;; amdgpu-corpus repo=ROCm/rocSOLVER kind=compiled arch=gfx1250 opt=O3
	.amdgcn_target "amdgcn-amd-amdhsa--gfx1250"
	.amdhsa_code_object_version 6
	.section	.text._ZN9rocsolver6v33100L11lasr_kernelIffPfiEEv13rocblas_side_14rocblas_pivot_15rocblas_direct_T2_S6_PT0_lS8_lT1_lS6_lS6_,"axG",@progbits,_ZN9rocsolver6v33100L11lasr_kernelIffPfiEEv13rocblas_side_14rocblas_pivot_15rocblas_direct_T2_S6_PT0_lS8_lT1_lS6_lS6_,comdat
	.globl	_ZN9rocsolver6v33100L11lasr_kernelIffPfiEEv13rocblas_side_14rocblas_pivot_15rocblas_direct_T2_S6_PT0_lS8_lT1_lS6_lS6_ ; -- Begin function _ZN9rocsolver6v33100L11lasr_kernelIffPfiEEv13rocblas_side_14rocblas_pivot_15rocblas_direct_T2_S6_PT0_lS8_lT1_lS6_lS6_
	.p2align	8
	.type	_ZN9rocsolver6v33100L11lasr_kernelIffPfiEEv13rocblas_side_14rocblas_pivot_15rocblas_direct_T2_S6_PT0_lS8_lT1_lS6_lS6_,@function
_ZN9rocsolver6v33100L11lasr_kernelIffPfiEEv13rocblas_side_14rocblas_pivot_15rocblas_direct_T2_S6_PT0_lS8_lT1_lS6_lS6_: ; @_ZN9rocsolver6v33100L11lasr_kernelIffPfiEEv13rocblas_side_14rocblas_pivot_15rocblas_direct_T2_S6_PT0_lS8_lT1_lS6_lS6_
; %bb.0:
	s_load_b32 s33, s[0:1], 0x58
	s_bfe_u32 s2, ttmp6, 0x40014
	s_lshr_b32 s3, ttmp7, 16
	s_add_co_i32 s2, s2, 1
	s_bfe_u32 s5, ttmp6, 0x40008
	s_mul_i32 s2, s3, s2
	s_getreg_b32 s4, hwreg(HW_REG_IB_STS2, 6, 4)
	s_add_co_i32 s5, s5, s2
	s_cmp_eq_u32 s4, 0
	s_cselect_b32 s2, s3, s5
	s_mov_b32 s3, 0
	s_wait_kmcnt 0x0
	s_cmp_ge_u32 s2, s33
	s_cbranch_scc1 .LBB0_108
; %bb.1:
	s_clause 0x3
	s_load_b32 s20, s[0:1], 0x48
	s_load_b64 s[22:23], s[0:1], 0x68
	s_load_b128 s[16:19], s[0:1], 0x38
	s_load_b128 s[12:15], s[0:1], 0x0
	s_bfe_u32 s5, ttmp6, 0x4000c
	s_and_b32 s6, ttmp6, 15
	s_add_co_i32 s5, s5, 1
	s_load_b32 s24, s[0:1], 0x60
	s_mul_i32 s5, ttmp9, s5
	s_mov_b32 s37, s3
	s_add_co_i32 s6, s6, s5
	s_mov_b32 s49, s3
	s_wait_kmcnt 0x0
	s_ashr_i32 s21, s20, 31
	s_and_b32 s25, s23, 0xffff
	s_cmp_eq_u32 s4, 0
	s_load_b32 s23, s[0:1], 0x10
	s_cselect_b32 s26, ttmp9, s6
	s_lshl_b64 s[46:47], s[18:19], 2
	v_mad_u32 v0, s26, s25, v0
	s_cmp_eq_u32 s12, 0x8d
	s_load_b64 s[18:19], s[0:1], 0x50
	s_cselect_b32 s27, -1, 0
	s_cmp_eq_u32 s12, 0x8e
	s_load_b256 s[4:11], s[0:1], 0x18
	s_cselect_b32 s28, -1, 0
	s_cmp_eq_u32 s13, 0x119
	s_mul_i32 s12, s24, s25
	s_cselect_b32 s29, -1, 0
	s_cmp_eq_u32 s13, 0x11b
	v_ashrrev_i32_e32 v1, 31, v0
	s_wait_xcnt 0x0
	s_cselect_b32 s0, -1, 0
	s_cmp_eq_u32 s13, 0x11a
	s_add_nc_u64 s[24:25], s[16:17], s[46:47]
	s_cselect_b32 s1, -1, 0
	v_mul_u64_e32 v[8:9], s[20:21], v[0:1]
	s_cmp_eq_u32 s14, 0xab
	v_lshlrev_b64_e32 v[10:11], 2, v[0:1]
	s_cselect_b32 s13, -1, 0
	s_cmp_eq_u32 s14, 0xac
	v_mov_b32_e32 v1, 0
	s_cselect_b32 s30, -1, 0
	s_and_b32 s26, s27, s1
	s_and_b32 s14, s27, s29
	;; [unrolled: 1-line block ×6, first 2 shown]
	s_xor_b32 s78, s26, -1
	s_and_b32 s26, s28, s29
	s_and_b32 s1, s28, s1
	;; [unrolled: 1-line block ×3, first 2 shown]
	v_cmp_gt_i32_e64 s0, s15, v0
	s_and_b32 s34, s14, s30
	s_xor_b32 s14, s31, -1
	s_and_b32 s31, s27, s13
	s_and_b32 s27, s27, s30
	s_and_b32 s29, s26, s13
	s_xor_b32 s80, s27, -1
	s_and_b32 s26, s26, s30
	s_and_b32 s27, s1, s13
	;; [unrolled: 1-line block ×3, first 2 shown]
	s_xor_b32 s82, s26, -1
	s_and_b32 s13, s28, s13
	s_xor_b32 s84, s1, -1
	s_wait_kmcnt 0x0
	s_add_co_i32 s26, s23, -1
	s_and_b32 s1, s30, s0
	s_xor_b32 s76, s34, -1
	s_xor_b32 s77, s35, -1
	;; [unrolled: 1-line block ×6, first 2 shown]
	s_ashr_i32 s27, s26, 31
	s_and_b32 s86, s28, s1
	s_add_co_i32 s36, s23, -2
	s_cmp_gt_i32 s23, 1
	s_mul_u64 s[28:29], s[20:21], s[26:27]
	s_mov_b32 s27, s3
	s_cselect_b32 s87, -1, 0
	s_ashr_i32 s31, s15, 31
	s_add_co_i32 s48, s15, -2
	s_cmp_gt_i32 s15, 1
	s_mul_u64 s[50:51], s[20:21], s[26:27]
	s_cselect_b32 s88, -1, 0
	s_lshl_b64 s[50:51], s[50:51], 2
	s_lshl_b64 s[42:43], s[20:21], 2
	s_add_nc_u64 s[50:51], s[50:51], s[46:47]
	s_lshl_b64 s[38:39], s[36:37], 2
	s_mul_u64 s[36:37], s[20:21], s[36:37]
	s_add_nc_u64 s[50:51], s[16:17], s[50:51]
	s_add_nc_u64 s[52:53], s[46:47], s[42:43]
	s_lshl_b64 s[36:37], s[36:37], 2
	v_add_nc_u64_e32 v[6:7], s[50:51], v[10:11]
	s_add_nc_u64 s[50:51], s[16:17], s[52:53]
	v_lshl_add_u64 v[14:15], v[8:9], 2, s[46:47]
	s_add_nc_u64 s[40:41], s[36:37], s[46:47]
	v_add_nc_u64_e32 v[8:9], s[50:51], v[10:11]
	s_lshl_b64 s[50:51], s[48:49], 2
	s_add_nc_u64 s[34:35], s[4:5], s[38:39]
	s_add_nc_u64 s[36:37], s[8:9], s[38:39]
	;; [unrolled: 1-line block ×4, first 2 shown]
	v_add_nc_u64_e32 v[2:3], s[38:39], v[10:11]
	v_add_nc_u64_e32 v[4:5], s[24:25], v[10:11]
	;; [unrolled: 1-line block ×4, first 2 shown]
	s_add_co_i32 s46, s15, -1
	s_mov_b32 s47, s3
	s_ashr_i32 s13, s12, 31
	s_lshl_b64 s[52:53], s[46:47], 2
	v_cmp_gt_i32_e64 s1, s23, v0
	s_add_nc_u64 s[16:17], s[16:17], s[52:53]
	v_add_nc_u64_e32 v[16:17], 4, v[10:11]
	v_add_nc_u64_e32 v[14:15], s[16:17], v[14:15]
	v_add_nc_u64_e32 v[18:19], 4, v[12:13]
	s_mul_u64 s[52:53], s[20:21], s[12:13]
	s_mov_b32 s30, s15
	s_lshl_b64 s[6:7], s[6:7], 2
	s_lshl_b64 s[10:11], s[10:11], 2
	;; [unrolled: 1-line block ×4, first 2 shown]
	s_sub_nc_u64 s[44:45], 0, s[42:43]
	s_add_co_i32 s27, s23, 1
	s_add_nc_u64 s[48:49], s[4:5], s[50:51]
	s_add_nc_u64 s[16:17], s[8:9], s[50:51]
	s_lshl_b64 s[50:51], s[52:53], 2
	s_add_co_i32 s13, s15, 1
	s_branch .LBB0_4
.LBB0_2:                                ;   in Loop: Header=BB0_4 Depth=1
	s_or_b32 exec_lo, exec_lo, s47
.LBB0_3:                                ;   in Loop: Header=BB0_4 Depth=1
	s_add_co_i32 s2, s2, s22
	s_delay_alu instid0(SALU_CYCLE_1)
	s_cmp_ge_u32 s2, s33
	s_cbranch_scc1 .LBB0_108
.LBB0_4:                                ; =>This Loop Header: Depth=1
                                        ;     Child Loop BB0_19 Depth 2
                                        ;       Child Loop BB0_20 Depth 3
                                        ;     Child Loop BB0_26 Depth 2
                                        ;       Child Loop BB0_27 Depth 3
	;; [unrolled: 2-line block ×12, first 2 shown]
	s_mul_u64 s[62:63], s[38:39], s[2:3]
	s_mul_u64 s[54:55], s[18:19], s[2:3]
	v_add_nc_u64_e32 v[20:21], s[62:63], v[16:17]
	s_mul_u64 s[64:65], s[6:7], s[2:3]
	s_mul_u64 s[66:67], s[10:11], s[2:3]
	s_lshl_b64 s[56:57], s[54:55], 2
	s_add_nc_u64 s[52:53], s[4:5], s[64:65]
	s_add_nc_u64 s[54:55], s[8:9], s[66:67]
	;; [unrolled: 1-line block ×3, first 2 shown]
	s_and_b32 vcc_lo, exec_lo, s14
	s_mov_b32 s47, -1
	s_cbranch_vccnz .LBB0_6
; %bb.5:                                ;   in Loop: Header=BB0_4 Depth=1
	s_and_not1_b32 vcc_lo, exec_lo, s47
	s_cbranch_vccnz .LBB0_3
	s_branch .LBB0_103
.LBB0_6:                                ;   in Loop: Header=BB0_4 Depth=1
	s_add_nc_u64 s[58:59], s[48:49], s[64:65]
	s_add_nc_u64 s[60:61], s[16:17], s[66:67]
	s_and_b32 vcc_lo, exec_lo, s76
	s_cbranch_vccz .LBB0_95
; %bb.7:                                ;   in Loop: Header=BB0_4 Depth=1
	s_and_b32 vcc_lo, exec_lo, s77
	s_cbranch_vccz .LBB0_87
; %bb.8:                                ;   in Loop: Header=BB0_4 Depth=1
	;; [unrolled: 3-line block ×3, first 2 shown]
	s_and_b32 vcc_lo, exec_lo, s79
	s_cbranch_vccz .LBB0_71
; %bb.10:                               ;   in Loop: Header=BB0_4 Depth=1
	s_and_b32 vcc_lo, exec_lo, s80
	s_cbranch_vccz .LBB0_63
; %bb.11:                               ;   in Loop: Header=BB0_4 Depth=1
	v_add_nc_u64_e32 v[22:23], s[62:63], v[4:5]
	s_and_b32 vcc_lo, exec_lo, s81
	s_cbranch_vccz .LBB0_55
; %bb.12:                               ;   in Loop: Header=BB0_4 Depth=1
	v_add_nc_u64_e32 v[24:25], s[62:63], v[6:7]
	v_add_nc_u64_e32 v[26:27], s[62:63], v[2:3]
	s_add_nc_u64 s[64:65], s[34:35], s[64:65]
	s_add_nc_u64 s[66:67], s[36:37], s[66:67]
	s_and_b32 vcc_lo, exec_lo, s82
	s_cbranch_vccz .LBB0_46
; %bb.13:                               ;   in Loop: Header=BB0_4 Depth=1
	s_and_b32 vcc_lo, exec_lo, s83
	s_cbranch_vccz .LBB0_38
; %bb.14:                               ;   in Loop: Header=BB0_4 Depth=1
	;; [unrolled: 3-line block ×4, first 2 shown]
	s_and_saveexec_b32 s47, s86
	s_cbranch_execz .LBB0_21
; %bb.17:                               ;   in Loop: Header=BB0_4 Depth=1
	v_mov_b64_e32 v[28:29], v[26:27]
	v_mov_b32_e32 v30, v0
	s_lshl_b64 s[68:69], s[28:29], 2
	s_mov_b32 s74, 0
	s_add_nc_u64 s[68:69], s[56:57], s[68:69]
	s_branch .LBB0_19
.LBB0_18:                               ;   in Loop: Header=BB0_19 Depth=2
	v_ashrrev_i32_e32 v31, 31, v30
	v_add_nc_u64_e32 v[28:29], s[40:41], v[28:29]
	s_delay_alu instid0(VALU_DEP_2)
	v_lshl_add_u64 v[34:35], v[30:31], 2, s[68:69]
	s_wait_xcnt 0x0
	v_add_nc_u32_e32 v30, s12, v30
	s_wait_loadcnt 0x0
	global_store_b32 v[34:35], v32, off
	v_cmp_le_i32_e32 vcc_lo, s15, v30
	s_or_b32 s74, vcc_lo, s74
	s_wait_xcnt 0x0
	s_and_not1_b32 exec_lo, exec_lo, s74
	s_cbranch_execz .LBB0_21
.LBB0_19:                               ;   Parent Loop BB0_4 Depth=1
                                        ; =>  This Loop Header: Depth=2
                                        ;       Child Loop BB0_20 Depth 3
	global_load_b32 v32, v30, s[68:69] scale_offset
	v_mov_b64_e32 v[34:35], v[28:29]
	s_and_not1_b32 vcc_lo, exec_lo, s87
	s_mov_b64 s[70:71], s[66:67]
	s_mov_b64 s[72:73], s[64:65]
	s_mov_b32 s75, s26
	s_cbranch_vccnz .LBB0_18
.LBB0_20:                               ;   Parent Loop BB0_4 Depth=1
                                        ;     Parent Loop BB0_19 Depth=2
                                        ; =>    This Inner Loop Header: Depth=3
	s_clause 0x1
	global_load_b32 v33, v1, s[72:73]
	global_load_b32 v36, v1, s[70:71]
	global_load_b32 v37, v[34:35], off
	s_wait_loadcnt 0x3
	v_mov_b32_e32 v38, v32
	s_add_co_i32 s75, s75, -1
	s_wait_xcnt 0x2
	s_add_nc_u64 s[72:73], s[72:73], -4
	s_cmp_eq_u32 s75, 0
	s_wait_xcnt 0x1
	s_add_nc_u64 s[70:71], s[70:71], -4
	s_wait_loadcnt 0x1
	v_mov_b32_e32 v39, v36
	s_wait_loadcnt 0x0
	v_pk_mul_f32 v[40:41], v[32:33], v[36:37]
	s_delay_alu instid0(VALU_DEP_1) | instskip(NEXT) | instid1(VALU_DEP_1)
	v_dual_mov_b32 v36, v33 :: v_dual_add_f32 v31, v40, v41
	v_pk_mul_f32 v[32:33], v[38:39], v[36:37]
	global_store_b32 v[34:35], v31, off
	s_wait_xcnt 0x0
	v_add_nc_u64_e32 v[34:35], s[44:45], v[34:35]
	v_sub_f32_e32 v32, v32, v33
	s_cbranch_scc0 .LBB0_20
	s_branch .LBB0_18
.LBB0_21:                               ;   in Loop: Header=BB0_4 Depth=1
	s_or_b32 exec_lo, exec_lo, s47
	s_mov_b32 s47, 0
.LBB0_22:                               ;   in Loop: Header=BB0_4 Depth=1
	s_delay_alu instid0(SALU_CYCLE_1)
	s_and_not1_b32 vcc_lo, exec_lo, s47
	s_cbranch_vccnz .LBB0_29
; %bb.23:                               ;   in Loop: Header=BB0_4 Depth=1
	s_and_saveexec_b32 s47, s0
	s_cbranch_execz .LBB0_28
; %bb.24:                               ;   in Loop: Header=BB0_4 Depth=1
	v_mov_b64_e32 v[28:29], v[22:23]
	v_mov_b32_e32 v30, v0
	s_lshl_b64 s[68:69], s[28:29], 2
	s_mov_b32 s74, 0
	s_add_nc_u64 s[68:69], s[56:57], s[68:69]
	s_branch .LBB0_26
.LBB0_25:                               ;   in Loop: Header=BB0_26 Depth=2
	v_ashrrev_i32_e32 v31, 31, v30
	v_add_nc_u64_e32 v[28:29], s[40:41], v[28:29]
	s_delay_alu instid0(VALU_DEP_2)
	v_lshl_add_u64 v[34:35], v[30:31], 2, s[68:69]
	s_wait_xcnt 0x0
	v_add_nc_u32_e32 v30, s12, v30
	s_wait_loadcnt 0x0
	global_store_b32 v[34:35], v32, off
	v_cmp_le_i32_e32 vcc_lo, s15, v30
	s_or_b32 s74, vcc_lo, s74
	s_wait_xcnt 0x0
	s_and_not1_b32 exec_lo, exec_lo, s74
	s_cbranch_execz .LBB0_28
.LBB0_26:                               ;   Parent Loop BB0_4 Depth=1
                                        ; =>  This Loop Header: Depth=2
                                        ;       Child Loop BB0_27 Depth 3
	global_load_b32 v32, v30, s[68:69] scale_offset
	v_mov_b64_e32 v[34:35], v[28:29]
	s_and_not1_b32 vcc_lo, exec_lo, s87
	s_mov_b64 s[70:71], s[54:55]
	s_mov_b64 s[72:73], s[52:53]
	s_mov_b32 s75, s26
	s_cbranch_vccnz .LBB0_25
.LBB0_27:                               ;   Parent Loop BB0_4 Depth=1
                                        ;     Parent Loop BB0_26 Depth=2
                                        ; =>    This Inner Loop Header: Depth=3
	s_clause 0x1
	global_load_b32 v33, v1, s[72:73]
	global_load_b32 v36, v1, s[70:71]
	global_load_b32 v37, v[34:35], off
	s_wait_loadcnt 0x3
	v_mov_b32_e32 v38, v32
	s_add_co_i32 s75, s75, -1
	s_wait_xcnt 0x2
	s_add_nc_u64 s[72:73], s[72:73], 4
	s_cmp_eq_u32 s75, 0
	s_wait_xcnt 0x1
	s_add_nc_u64 s[70:71], s[70:71], 4
	s_wait_loadcnt 0x1
	v_mov_b32_e32 v39, v36
	s_wait_loadcnt 0x0
	v_pk_mul_f32 v[40:41], v[32:33], v[36:37]
	s_delay_alu instid0(VALU_DEP_1) | instskip(NEXT) | instid1(VALU_DEP_1)
	v_dual_mov_b32 v36, v33 :: v_dual_add_f32 v31, v40, v41
	v_pk_mul_f32 v[32:33], v[38:39], v[36:37]
	global_store_b32 v[34:35], v31, off
	s_wait_xcnt 0x0
	v_add_nc_u64_e32 v[34:35], s[42:43], v[34:35]
	v_sub_f32_e32 v32, v32, v33
	s_cbranch_scc0 .LBB0_27
	s_branch .LBB0_25
.LBB0_28:                               ;   in Loop: Header=BB0_4 Depth=1
	s_or_b32 exec_lo, exec_lo, s47
.LBB0_29:                               ;   in Loop: Header=BB0_4 Depth=1
	s_mov_b32 s47, 0
.LBB0_30:                               ;   in Loop: Header=BB0_4 Depth=1
	s_delay_alu instid0(SALU_CYCLE_1)
	s_and_not1_b32 vcc_lo, exec_lo, s47
	s_cbranch_vccnz .LBB0_37
; %bb.31:                               ;   in Loop: Header=BB0_4 Depth=1
	s_and_saveexec_b32 s47, s0
	s_cbranch_execz .LBB0_36
; %bb.32:                               ;   in Loop: Header=BB0_4 Depth=1
	v_mov_b64_e32 v[28:29], v[24:25]
	v_mov_b32_e32 v30, v0
	s_mov_b32 s72, 0
	s_branch .LBB0_34
.LBB0_33:                               ;   in Loop: Header=BB0_34 Depth=2
	v_ashrrev_i32_e32 v31, 31, v30
	v_add_nc_u64_e32 v[28:29], s[40:41], v[28:29]
	s_delay_alu instid0(VALU_DEP_2)
	v_lshl_add_u64 v[34:35], v[30:31], 2, s[56:57]
	s_wait_xcnt 0x0
	v_add_nc_u32_e32 v30, s12, v30
	s_wait_loadcnt 0x0
	global_store_b32 v[34:35], v33, off
	v_cmp_le_i32_e32 vcc_lo, s15, v30
	s_or_b32 s72, vcc_lo, s72
	s_wait_xcnt 0x0
	s_and_not1_b32 exec_lo, exec_lo, s72
	s_cbranch_execz .LBB0_36
.LBB0_34:                               ;   Parent Loop BB0_4 Depth=1
                                        ; =>  This Loop Header: Depth=2
                                        ;       Child Loop BB0_35 Depth 3
	global_load_b32 v33, v30, s[56:57] scale_offset
	v_mov_b64_e32 v[34:35], v[28:29]
	s_and_not1_b32 vcc_lo, exec_lo, s87
	s_mov_b64 s[68:69], s[66:67]
	s_mov_b64 s[70:71], s[64:65]
	s_mov_b32 s73, s27
	s_cbranch_vccnz .LBB0_33
.LBB0_35:                               ;   Parent Loop BB0_4 Depth=1
                                        ;     Parent Loop BB0_34 Depth=2
                                        ; =>    This Inner Loop Header: Depth=3
	s_clause 0x1
	global_load_b32 v32, v1, s[70:71]
	global_load_b32 v37, v1, s[68:69]
	global_load_b32 v36, v[34:35], off
	s_wait_loadcnt 0x3
	v_mov_b32_e32 v38, v33
	s_add_co_i32 s73, s73, -1
	s_wait_xcnt 0x2
	s_add_nc_u64 s[70:71], s[70:71], -4
	s_cmp_lt_u32 s73, 3
	s_wait_xcnt 0x1
	s_add_nc_u64 s[68:69], s[68:69], -4
	s_wait_loadcnt 0x1
	v_mov_b32_e32 v39, v37
	s_wait_loadcnt 0x0
	v_pk_mul_f32 v[40:41], v[32:33], v[36:37]
	v_mov_b32_e32 v33, v36
	s_delay_alu instid0(VALU_DEP_2) | instskip(NEXT) | instid1(VALU_DEP_2)
	v_sub_f32_e32 v31, v40, v41
	v_pk_mul_f32 v[32:33], v[38:39], v[32:33]
	global_store_b32 v[34:35], v31, off
	s_wait_xcnt 0x0
	v_add_nc_u64_e32 v[34:35], s[44:45], v[34:35]
	v_add_f32_e32 v33, v32, v33
	s_cbranch_scc0 .LBB0_35
	s_branch .LBB0_33
.LBB0_36:                               ;   in Loop: Header=BB0_4 Depth=1
	s_or_b32 exec_lo, exec_lo, s47
.LBB0_37:                               ;   in Loop: Header=BB0_4 Depth=1
	s_mov_b32 s47, 0
.LBB0_38:                               ;   in Loop: Header=BB0_4 Depth=1
	s_delay_alu instid0(SALU_CYCLE_1)
	s_and_not1_b32 vcc_lo, exec_lo, s47
	s_cbranch_vccnz .LBB0_45
; %bb.39:                               ;   in Loop: Header=BB0_4 Depth=1
	s_and_saveexec_b32 s47, s0
	s_cbranch_execz .LBB0_44
; %bb.40:                               ;   in Loop: Header=BB0_4 Depth=1
	v_add_nc_u64_e32 v[28:29], s[62:63], v[8:9]
	v_mov_b32_e32 v30, v0
	s_mov_b32 s72, 0
	s_branch .LBB0_42
.LBB0_41:                               ;   in Loop: Header=BB0_42 Depth=2
	v_ashrrev_i32_e32 v31, 31, v30
	v_add_nc_u64_e32 v[28:29], s[40:41], v[28:29]
	s_delay_alu instid0(VALU_DEP_2)
	v_lshl_add_u64 v[34:35], v[30:31], 2, s[56:57]
	s_wait_xcnt 0x0
	v_add_nc_u32_e32 v30, s12, v30
	s_wait_loadcnt 0x0
	global_store_b32 v[34:35], v33, off
	v_cmp_le_i32_e32 vcc_lo, s15, v30
	s_or_b32 s72, vcc_lo, s72
	s_wait_xcnt 0x0
	s_and_not1_b32 exec_lo, exec_lo, s72
	s_cbranch_execz .LBB0_44
.LBB0_42:                               ;   Parent Loop BB0_4 Depth=1
                                        ; =>  This Loop Header: Depth=2
                                        ;       Child Loop BB0_43 Depth 3
	global_load_b32 v33, v30, s[56:57] scale_offset
	v_mov_b64_e32 v[34:35], v[28:29]
	s_and_not1_b32 vcc_lo, exec_lo, s87
	s_mov_b32 s73, s26
	s_mov_b64 s[68:69], s[52:53]
	s_mov_b64 s[70:71], s[54:55]
	s_cbranch_vccnz .LBB0_41
.LBB0_43:                               ;   Parent Loop BB0_4 Depth=1
                                        ;     Parent Loop BB0_42 Depth=2
                                        ; =>    This Inner Loop Header: Depth=3
	s_clause 0x1
	global_load_b32 v32, v1, s[68:69]
	global_load_b32 v37, v1, s[70:71]
	global_load_b32 v36, v[34:35], off
	s_wait_loadcnt 0x3
	v_mov_b32_e32 v38, v33
	s_add_co_i32 s73, s73, -1
	s_wait_xcnt 0x1
	s_add_nc_u64 s[70:71], s[70:71], 4
	s_cmp_eq_u32 s73, 0
	s_add_nc_u64 s[68:69], s[68:69], 4
	s_wait_loadcnt 0x1
	v_mov_b32_e32 v39, v37
	s_wait_loadcnt 0x0
	v_pk_mul_f32 v[40:41], v[32:33], v[36:37]
	v_mov_b32_e32 v33, v36
	s_delay_alu instid0(VALU_DEP_2) | instskip(NEXT) | instid1(VALU_DEP_2)
	v_sub_f32_e32 v31, v40, v41
	v_pk_mul_f32 v[32:33], v[38:39], v[32:33]
	global_store_b32 v[34:35], v31, off
	s_wait_xcnt 0x0
	v_add_nc_u64_e32 v[34:35], s[42:43], v[34:35]
	v_add_f32_e32 v33, v32, v33
	s_cbranch_scc0 .LBB0_43
	s_branch .LBB0_41
.LBB0_44:                               ;   in Loop: Header=BB0_4 Depth=1
	s_or_b32 exec_lo, exec_lo, s47
.LBB0_45:                               ;   in Loop: Header=BB0_4 Depth=1
	s_mov_b32 s47, 0
.LBB0_46:                               ;   in Loop: Header=BB0_4 Depth=1
	s_delay_alu instid0(SALU_CYCLE_1)
	s_and_not1_b32 vcc_lo, exec_lo, s47
	s_cbranch_vccnz .LBB0_54
; %bb.47:                               ;   in Loop: Header=BB0_4 Depth=1
	s_and_saveexec_b32 s47, s0
	s_cbranch_execz .LBB0_53
; %bb.48:                               ;   in Loop: Header=BB0_4 Depth=1
	v_mov_b32_e32 v28, v0
	s_lshl_b64 s[68:69], s[28:29], 2
	s_mov_b32 s89, 0
	s_add_nc_u64 s[68:69], s[56:57], s[68:69]
	s_branch .LBB0_50
.LBB0_49:                               ;   in Loop: Header=BB0_50 Depth=2
	s_wait_xcnt 0x0
	v_ashrrev_i32_e32 v29, 31, v28
	v_add_nc_u64_e32 v[24:25], s[40:41], v[24:25]
	v_add_nc_u64_e32 v[26:27], s[40:41], v[26:27]
	s_delay_alu instid0(VALU_DEP_3)
	v_lshl_add_u64 v[32:33], v[28:29], 2, s[56:57]
	v_add_nc_u32_e32 v28, s12, v28
	s_wait_loadcnt 0x0
	global_store_b32 v[32:33], v30, off
	v_cmp_le_i32_e32 vcc_lo, s15, v28
	s_or_b32 s89, vcc_lo, s89
	s_wait_xcnt 0x0
	s_and_not1_b32 exec_lo, exec_lo, s89
	s_cbranch_execz .LBB0_53
.LBB0_50:                               ;   Parent Loop BB0_4 Depth=1
                                        ; =>  This Loop Header: Depth=2
                                        ;       Child Loop BB0_52 Depth 3
	global_load_b32 v30, v28, s[68:69] scale_offset
	s_and_not1_b32 vcc_lo, exec_lo, s87
	s_cbranch_vccnz .LBB0_49
; %bb.51:                               ;   in Loop: Header=BB0_50 Depth=2
	s_mov_b64 s[70:71], 0
	s_mov_b64 s[72:73], s[66:67]
	;; [unrolled: 1-line block ×3, first 2 shown]
	s_mov_b32 s90, s26
.LBB0_52:                               ;   Parent Loop BB0_4 Depth=1
                                        ;     Parent Loop BB0_50 Depth=2
                                        ; =>    This Inner Loop Header: Depth=3
	s_wait_xcnt 0x0
	v_add_nc_u64_e32 v[32:33], s[70:71], v[26:27]
	s_add_co_i32 s90, s90, -1
	s_clause 0x1
	global_load_b32 v34, v1, s[74:75]
	global_load_b32 v31, v1, s[72:73]
	global_load_b32 v35, v[32:33], off
	s_wait_loadcnt 0x3
	s_wait_xcnt 0x0
	v_mov_b32_e32 v32, v30
	s_add_nc_u64 s[74:75], s[74:75], -4
	s_cmp_eq_u32 s90, 0
	s_add_nc_u64 s[72:73], s[72:73], -4
	s_wait_loadcnt 0x2
	v_mov_b32_e32 v33, v34
	s_wait_loadcnt 0x0
	v_pk_mul_f32 v[36:37], v[30:31], v[34:35]
	s_delay_alu instid0(VALU_DEP_1) | instskip(NEXT) | instid1(VALU_DEP_1)
	v_dual_mov_b32 v34, v31 :: v_dual_sub_f32 v29, v36, v37
	v_pk_mul_f32 v[30:31], v[32:33], v[34:35]
	v_add_nc_u64_e32 v[32:33], s[70:71], v[24:25]
	s_sub_nc_u64 s[70:71], s[70:71], s[42:43]
	s_delay_alu instid0(VALU_DEP_2)
	v_add_f32_e32 v30, v30, v31
	global_store_b32 v[32:33], v29, off
	s_cbranch_scc0 .LBB0_52
	s_branch .LBB0_49
.LBB0_53:                               ;   in Loop: Header=BB0_4 Depth=1
	s_or_b32 exec_lo, exec_lo, s47
.LBB0_54:                               ;   in Loop: Header=BB0_4 Depth=1
	s_mov_b32 s47, 0
.LBB0_55:                               ;   in Loop: Header=BB0_4 Depth=1
	s_delay_alu instid0(SALU_CYCLE_1)
	s_and_not1_b32 vcc_lo, exec_lo, s47
	s_cbranch_vccnz .LBB0_62
; %bb.56:                               ;   in Loop: Header=BB0_4 Depth=1
	s_and_saveexec_b32 s47, s0
	s_cbranch_execz .LBB0_61
; %bb.57:                               ;   in Loop: Header=BB0_4 Depth=1
	v_mov_b32_e32 v24, v0
	s_lshl_b64 s[64:65], s[28:29], 2
	s_mov_b32 s70, 0
	s_add_nc_u64 s[64:65], s[56:57], s[64:65]
	s_branch .LBB0_59
.LBB0_58:                               ;   in Loop: Header=BB0_59 Depth=2
	v_ashrrev_i32_e32 v25, 31, v24
	v_add_nc_u64_e32 v[22:23], s[40:41], v[22:23]
	s_delay_alu instid0(VALU_DEP_2)
	v_lshl_add_u64 v[28:29], v[24:25], 2, s[64:65]
	s_wait_xcnt 0x0
	v_add_nc_u32_e32 v24, s12, v24
	s_wait_loadcnt 0x0
	global_store_b32 v[28:29], v26, off
	v_cmp_le_i32_e32 vcc_lo, s15, v24
	s_or_b32 s70, vcc_lo, s70
	s_wait_xcnt 0x0
	s_and_not1_b32 exec_lo, exec_lo, s70
	s_cbranch_execz .LBB0_61
.LBB0_59:                               ;   Parent Loop BB0_4 Depth=1
                                        ; =>  This Loop Header: Depth=2
                                        ;       Child Loop BB0_60 Depth 3
	global_load_b32 v26, v24, s[56:57] scale_offset
	v_mov_b64_e32 v[28:29], v[22:23]
	s_and_not1_b32 vcc_lo, exec_lo, s87
	s_mov_b64 s[66:67], s[54:55]
	s_mov_b64 s[68:69], s[52:53]
	s_mov_b32 s71, s26
	s_cbranch_vccnz .LBB0_58
.LBB0_60:                               ;   Parent Loop BB0_4 Depth=1
                                        ;     Parent Loop BB0_59 Depth=2
                                        ; =>    This Inner Loop Header: Depth=3
	s_delay_alu instid0(VALU_DEP_1)
	v_add_nc_u64_e32 v[30:31], s[42:43], v[28:29]
	s_add_co_i32 s71, s71, -1
	s_clause 0x1
	global_load_b32 v32, v1, s[68:69]
	global_load_b32 v27, v1, s[66:67]
	global_load_b32 v33, v[30:31], off
	s_wait_loadcnt 0x3
	v_mov_b32_e32 v35, v26
	s_wait_xcnt 0x2
	s_add_nc_u64 s[68:69], s[68:69], 4
	s_cmp_eq_u32 s71, 0
	s_wait_xcnt 0x1
	s_add_nc_u64 s[66:67], s[66:67], 4
	s_wait_loadcnt 0x2
	v_mov_b32_e32 v34, v32
	s_wait_loadcnt 0x0
	v_pk_mul_f32 v[36:37], v[26:27], v[32:33]
	s_delay_alu instid0(VALU_DEP_1) | instskip(NEXT) | instid1(VALU_DEP_1)
	v_dual_mov_b32 v26, v33 :: v_dual_add_f32 v25, v36, v37
	v_pk_mul_f32 v[26:27], v[34:35], v[26:27]
	global_store_b32 v[28:29], v25, off
	s_wait_xcnt 0x0
	v_mov_b64_e32 v[28:29], v[30:31]
	v_sub_f32_e32 v26, v26, v27
	s_cbranch_scc0 .LBB0_60
	s_branch .LBB0_58
.LBB0_61:                               ;   in Loop: Header=BB0_4 Depth=1
	s_or_b32 exec_lo, exec_lo, s47
.LBB0_62:                               ;   in Loop: Header=BB0_4 Depth=1
	s_mov_b32 s47, 0
.LBB0_63:                               ;   in Loop: Header=BB0_4 Depth=1
	s_delay_alu instid0(SALU_CYCLE_1)
	s_and_not1_b32 vcc_lo, exec_lo, s47
	s_cbranch_vccnz .LBB0_70
; %bb.64:                               ;   in Loop: Header=BB0_4 Depth=1
	s_and_saveexec_b32 s47, s1
	s_cbranch_execz .LBB0_69
; %bb.65:                               ;   in Loop: Header=BB0_4 Depth=1
	v_add_nc_u64_e32 v[22:23], s[62:63], v[12:13]
	v_mov_b32_e32 v24, v0
	s_lshl_b64 s[64:65], s[30:31], 2
	s_mov_b32 s70, 0
	s_add_nc_u64 s[64:65], s[56:57], s[64:65]
	s_branch .LBB0_67
.LBB0_66:                               ;   in Loop: Header=BB0_67 Depth=2
	v_add_nc_u32_e32 v24, s12, v24
	v_add_nc_u64_e32 v[22:23], s[50:51], v[22:23]
	s_wait_loadcnt 0x0
	global_store_b32 v[26:27], v28, off offset:-4
	v_cmp_le_i32_e32 vcc_lo, s23, v24
	s_or_b32 s70, vcc_lo, s70
	s_wait_xcnt 0x0
	s_and_not1_b32 exec_lo, exec_lo, s70
	s_cbranch_execz .LBB0_69
.LBB0_67:                               ;   Parent Loop BB0_4 Depth=1
                                        ; =>  This Loop Header: Depth=2
                                        ;       Child Loop BB0_68 Depth 3
	v_ashrrev_i32_e32 v25, 31, v24
	v_mov_b64_e32 v[30:31], v[22:23]
	s_and_not1_b32 vcc_lo, exec_lo, s88
	s_mov_b64 s[66:67], s[60:61]
	s_mov_b64 s[68:69], s[58:59]
	v_mul_u64_e32 v[26:27], s[20:21], v[24:25]
	s_mov_b32 s71, s46
	s_delay_alu instid0(VALU_DEP_1)
	v_lshl_add_u64 v[26:27], v[26:27], 2, s[64:65]
	global_load_b32 v28, v[26:27], off offset:-4
	s_cbranch_vccnz .LBB0_66
.LBB0_68:                               ;   Parent Loop BB0_4 Depth=1
                                        ;     Parent Loop BB0_67 Depth=2
                                        ; =>    This Inner Loop Header: Depth=3
	s_clause 0x1
	global_load_b32 v29, v1, s[68:69]
	global_load_b32 v32, v1, s[66:67]
	global_load_b32 v33, v[30:31], off
	s_wait_loadcnt 0x3
	v_mov_b32_e32 v34, v28
	s_add_co_i32 s71, s71, -1
	s_wait_xcnt 0x2
	s_add_nc_u64 s[68:69], s[68:69], -4
	s_cmp_eq_u32 s71, 0
	s_wait_xcnt 0x1
	s_add_nc_u64 s[66:67], s[66:67], -4
	s_wait_loadcnt 0x1
	v_mov_b32_e32 v35, v32
	s_wait_loadcnt 0x0
	v_pk_mul_f32 v[36:37], v[28:29], v[32:33]
	s_delay_alu instid0(VALU_DEP_1) | instskip(NEXT) | instid1(VALU_DEP_1)
	v_dual_mov_b32 v32, v29 :: v_dual_add_f32 v25, v36, v37
	v_pk_mul_f32 v[28:29], v[34:35], v[32:33]
	global_store_b32 v[30:31], v25, off
	s_wait_xcnt 0x0
	v_add_nc_u64_e32 v[30:31], -4, v[30:31]
	v_sub_f32_e32 v28, v28, v29
	s_cbranch_scc0 .LBB0_68
	s_branch .LBB0_66
.LBB0_69:                               ;   in Loop: Header=BB0_4 Depth=1
	s_or_b32 exec_lo, exec_lo, s47
.LBB0_70:                               ;   in Loop: Header=BB0_4 Depth=1
	s_mov_b32 s47, 0
.LBB0_71:                               ;   in Loop: Header=BB0_4 Depth=1
	s_delay_alu instid0(SALU_CYCLE_1)
	s_and_not1_b32 vcc_lo, exec_lo, s47
	s_cbranch_vccnz .LBB0_78
; %bb.72:                               ;   in Loop: Header=BB0_4 Depth=1
	s_and_saveexec_b32 s47, s1
	s_cbranch_execz .LBB0_77
; %bb.73:                               ;   in Loop: Header=BB0_4 Depth=1
	v_add_nc_u64_e32 v[22:23], s[62:63], v[10:11]
	v_mov_b32_e32 v24, v0
	s_lshl_b64 s[64:65], s[30:31], 2
	s_mov_b32 s70, 0
	s_add_nc_u64 s[64:65], s[56:57], s[64:65]
	s_branch .LBB0_75
.LBB0_74:                               ;   in Loop: Header=BB0_75 Depth=2
	v_add_nc_u32_e32 v24, s12, v24
	v_add_nc_u64_e32 v[22:23], s[50:51], v[22:23]
	s_wait_loadcnt 0x0
	global_store_b32 v[26:27], v28, off offset:-4
	v_cmp_le_i32_e32 vcc_lo, s23, v24
	s_or_b32 s70, vcc_lo, s70
	s_wait_xcnt 0x0
	s_and_not1_b32 exec_lo, exec_lo, s70
	s_cbranch_execz .LBB0_77
.LBB0_75:                               ;   Parent Loop BB0_4 Depth=1
                                        ; =>  This Loop Header: Depth=2
                                        ;       Child Loop BB0_76 Depth 3
	v_ashrrev_i32_e32 v25, 31, v24
	v_mov_b64_e32 v[30:31], v[22:23]
	s_and_not1_b32 vcc_lo, exec_lo, s88
	s_mov_b64 s[66:67], s[54:55]
	s_mov_b64 s[68:69], s[52:53]
	v_mul_u64_e32 v[26:27], s[20:21], v[24:25]
	s_mov_b32 s71, s46
	s_delay_alu instid0(VALU_DEP_1)
	v_lshl_add_u64 v[26:27], v[26:27], 2, s[64:65]
	global_load_b32 v28, v[26:27], off offset:-4
	s_cbranch_vccnz .LBB0_74
.LBB0_76:                               ;   Parent Loop BB0_4 Depth=1
                                        ;     Parent Loop BB0_75 Depth=2
                                        ; =>    This Inner Loop Header: Depth=3
	s_clause 0x1
	global_load_b32 v29, v1, s[68:69]
	global_load_b32 v32, v1, s[66:67]
	global_load_b32 v33, v[30:31], off
	s_wait_loadcnt 0x3
	v_mov_b32_e32 v34, v28
	s_add_co_i32 s71, s71, -1
	s_wait_xcnt 0x2
	s_add_nc_u64 s[68:69], s[68:69], 4
	s_cmp_eq_u32 s71, 0
	s_wait_xcnt 0x1
	s_add_nc_u64 s[66:67], s[66:67], 4
	s_wait_loadcnt 0x1
	v_mov_b32_e32 v35, v32
	s_wait_loadcnt 0x0
	v_pk_mul_f32 v[36:37], v[28:29], v[32:33]
	s_delay_alu instid0(VALU_DEP_1) | instskip(NEXT) | instid1(VALU_DEP_1)
	v_dual_mov_b32 v32, v29 :: v_dual_add_f32 v25, v36, v37
	v_pk_mul_f32 v[28:29], v[34:35], v[32:33]
	global_store_b32 v[30:31], v25, off
	s_wait_xcnt 0x0
	v_add_nc_u64_e32 v[30:31], 4, v[30:31]
	v_sub_f32_e32 v28, v28, v29
	s_cbranch_scc0 .LBB0_76
	s_branch .LBB0_74
.LBB0_77:                               ;   in Loop: Header=BB0_4 Depth=1
	s_or_b32 exec_lo, exec_lo, s47
.LBB0_78:                               ;   in Loop: Header=BB0_4 Depth=1
	s_mov_b32 s47, 0
.LBB0_79:                               ;   in Loop: Header=BB0_4 Depth=1
	s_delay_alu instid0(SALU_CYCLE_1)
	s_and_not1_b32 vcc_lo, exec_lo, s47
	s_cbranch_vccnz .LBB0_86
; %bb.80:                               ;   in Loop: Header=BB0_4 Depth=1
	s_and_saveexec_b32 s47, s1
	s_cbranch_execz .LBB0_85
; %bb.81:                               ;   in Loop: Header=BB0_4 Depth=1
	v_add_nc_u64_e32 v[22:23], s[62:63], v[14:15]
	v_mov_b32_e32 v24, v0
	s_mov_b32 s68, 0
	s_branch .LBB0_83
.LBB0_82:                               ;   in Loop: Header=BB0_83 Depth=2
	v_add_nc_u32_e32 v24, s12, v24
	v_add_nc_u64_e32 v[22:23], s[50:51], v[22:23]
	s_wait_loadcnt 0x0
	global_store_b32 v[26:27], v29, off
	v_cmp_le_i32_e32 vcc_lo, s23, v24
	s_or_b32 s68, vcc_lo, s68
	s_wait_xcnt 0x0
	s_and_not1_b32 exec_lo, exec_lo, s68
	s_cbranch_execz .LBB0_85
.LBB0_83:                               ;   Parent Loop BB0_4 Depth=1
                                        ; =>  This Loop Header: Depth=2
                                        ;       Child Loop BB0_84 Depth 3
	s_delay_alu instid0(VALU_DEP_1) | instskip(NEXT) | instid1(VALU_DEP_3)
	v_ashrrev_i32_e32 v25, 31, v24
	v_mov_b64_e32 v[30:31], v[22:23]
	s_and_not1_b32 vcc_lo, exec_lo, s88
	s_mov_b64 s[64:65], s[60:61]
	s_mov_b64 s[66:67], s[58:59]
	v_mul_u64_e32 v[26:27], s[20:21], v[24:25]
	s_mov_b32 s69, s13
	s_delay_alu instid0(VALU_DEP_1)
	v_lshl_add_u64 v[26:27], v[26:27], 2, s[56:57]
	global_load_b32 v29, v[26:27], off
	s_cbranch_vccnz .LBB0_82
.LBB0_84:                               ;   Parent Loop BB0_4 Depth=1
                                        ;     Parent Loop BB0_83 Depth=2
                                        ; =>    This Inner Loop Header: Depth=3
	s_clause 0x1
	global_load_b32 v28, v1, s[66:67]
	global_load_b32 v33, v1, s[64:65]
	global_load_b32 v32, v[30:31], off
	s_wait_loadcnt 0x3
	v_mov_b32_e32 v34, v29
	s_add_co_i32 s69, s69, -1
	s_wait_xcnt 0x2
	s_add_nc_u64 s[66:67], s[66:67], -4
	s_cmp_lt_u32 s69, 3
	s_wait_xcnt 0x1
	s_add_nc_u64 s[64:65], s[64:65], -4
	s_wait_loadcnt 0x1
	v_mov_b32_e32 v35, v33
	s_wait_loadcnt 0x0
	v_pk_mul_f32 v[36:37], v[28:29], v[32:33]
	v_mov_b32_e32 v29, v32
	s_delay_alu instid0(VALU_DEP_2) | instskip(NEXT) | instid1(VALU_DEP_2)
	v_sub_f32_e32 v25, v36, v37
	v_pk_mul_f32 v[28:29], v[34:35], v[28:29]
	global_store_b32 v[30:31], v25, off
	s_wait_xcnt 0x0
	v_add_nc_u64_e32 v[30:31], -4, v[30:31]
	v_add_f32_e32 v29, v28, v29
	s_cbranch_scc0 .LBB0_84
	s_branch .LBB0_82
.LBB0_85:                               ;   in Loop: Header=BB0_4 Depth=1
	s_or_b32 exec_lo, exec_lo, s47
.LBB0_86:                               ;   in Loop: Header=BB0_4 Depth=1
	s_mov_b32 s47, 0
.LBB0_87:                               ;   in Loop: Header=BB0_4 Depth=1
	s_delay_alu instid0(SALU_CYCLE_1)
	s_and_not1_b32 vcc_lo, exec_lo, s47
	s_cbranch_vccnz .LBB0_94
; %bb.88:                               ;   in Loop: Header=BB0_4 Depth=1
	s_and_saveexec_b32 s47, s1
	s_cbranch_execz .LBB0_93
; %bb.89:                               ;   in Loop: Header=BB0_4 Depth=1
	v_mov_b64_e32 v[22:23], v[20:21]
	v_mov_b32_e32 v24, v0
	s_mov_b32 s68, 0
	s_branch .LBB0_91
.LBB0_90:                               ;   in Loop: Header=BB0_91 Depth=2
	v_add_nc_u32_e32 v24, s12, v24
	v_add_nc_u64_e32 v[22:23], s[50:51], v[22:23]
	s_wait_loadcnt 0x0
	global_store_b32 v[26:27], v29, off
	v_cmp_le_i32_e32 vcc_lo, s23, v24
	s_or_b32 s68, vcc_lo, s68
	s_wait_xcnt 0x0
	s_and_not1_b32 exec_lo, exec_lo, s68
	s_cbranch_execz .LBB0_93
.LBB0_91:                               ;   Parent Loop BB0_4 Depth=1
                                        ; =>  This Loop Header: Depth=2
                                        ;       Child Loop BB0_92 Depth 3
	s_delay_alu instid0(VALU_DEP_1) | instskip(NEXT) | instid1(VALU_DEP_3)
	v_ashrrev_i32_e32 v25, 31, v24
	v_mov_b64_e32 v[30:31], v[22:23]
	s_and_not1_b32 vcc_lo, exec_lo, s88
	s_mov_b32 s69, s46
	s_mov_b64 s[64:65], s[52:53]
	v_mul_u64_e32 v[26:27], s[20:21], v[24:25]
	s_mov_b64 s[66:67], s[54:55]
	s_delay_alu instid0(VALU_DEP_1)
	v_lshl_add_u64 v[26:27], v[26:27], 2, s[56:57]
	global_load_b32 v29, v[26:27], off
	s_cbranch_vccnz .LBB0_90
.LBB0_92:                               ;   Parent Loop BB0_4 Depth=1
                                        ;     Parent Loop BB0_91 Depth=2
                                        ; =>    This Inner Loop Header: Depth=3
	s_clause 0x1
	global_load_b32 v28, v1, s[64:65]
	global_load_b32 v33, v1, s[66:67]
	global_load_b32 v32, v[30:31], off
	s_wait_loadcnt 0x3
	v_mov_b32_e32 v34, v29
	s_add_co_i32 s69, s69, -1
	s_wait_xcnt 0x1
	s_add_nc_u64 s[66:67], s[66:67], 4
	s_cmp_eq_u32 s69, 0
	s_add_nc_u64 s[64:65], s[64:65], 4
	s_wait_loadcnt 0x1
	v_mov_b32_e32 v35, v33
	s_wait_loadcnt 0x0
	v_pk_mul_f32 v[36:37], v[28:29], v[32:33]
	v_mov_b32_e32 v29, v32
	s_delay_alu instid0(VALU_DEP_2) | instskip(NEXT) | instid1(VALU_DEP_2)
	v_sub_f32_e32 v25, v36, v37
	v_pk_mul_f32 v[28:29], v[34:35], v[28:29]
	global_store_b32 v[30:31], v25, off
	s_wait_xcnt 0x0
	v_add_nc_u64_e32 v[30:31], 4, v[30:31]
	v_add_f32_e32 v29, v28, v29
	s_cbranch_scc0 .LBB0_92
	s_branch .LBB0_90
.LBB0_93:                               ;   in Loop: Header=BB0_4 Depth=1
	s_or_b32 exec_lo, exec_lo, s47
.LBB0_94:                               ;   in Loop: Header=BB0_4 Depth=1
	s_mov_b32 s47, 0
.LBB0_95:                               ;   in Loop: Header=BB0_4 Depth=1
	s_delay_alu instid0(SALU_CYCLE_1)
	s_and_not1_b32 vcc_lo, exec_lo, s47
	s_cbranch_vccnz .LBB0_102
; %bb.96:                               ;   in Loop: Header=BB0_4 Depth=1
	s_and_saveexec_b32 s47, s1
	s_cbranch_execz .LBB0_101
; %bb.97:                               ;   in Loop: Header=BB0_4 Depth=1
	v_add_nc_u64_e32 v[22:23], s[62:63], v[18:19]
	v_mov_b32_e32 v24, v0
	s_lshl_b64 s[62:63], s[30:31], 2
	s_mov_b32 s68, 0
	s_add_nc_u64 s[62:63], s[56:57], s[62:63]
	s_branch .LBB0_99
.LBB0_98:                               ;   in Loop: Header=BB0_99 Depth=2
	v_add_nc_u32_e32 v24, s12, v24
	v_add_nc_u64_e32 v[22:23], s[50:51], v[22:23]
	v_lshl_add_u64 v[26:27], v[26:27], 2, s[56:57]
	s_delay_alu instid0(VALU_DEP_3)
	v_cmp_le_i32_e32 vcc_lo, s23, v24
	s_wait_loadcnt 0x0
	global_store_b32 v[26:27], v28, off
	s_or_b32 s68, vcc_lo, s68
	s_wait_xcnt 0x0
	s_and_not1_b32 exec_lo, exec_lo, s68
	s_cbranch_execz .LBB0_101
.LBB0_99:                               ;   Parent Loop BB0_4 Depth=1
                                        ; =>  This Loop Header: Depth=2
                                        ;       Child Loop BB0_100 Depth 3
	v_ashrrev_i32_e32 v25, 31, v24
	v_mov_b64_e32 v[30:31], v[22:23]
	s_and_not1_b32 vcc_lo, exec_lo, s88
	s_mov_b64 s[64:65], s[60:61]
	s_mov_b64 s[66:67], s[58:59]
	v_mul_u64_e32 v[26:27], s[20:21], v[24:25]
	s_mov_b32 s69, s46
	s_delay_alu instid0(VALU_DEP_1)
	v_lshl_add_u64 v[28:29], v[26:27], 2, s[62:63]
	global_load_b32 v28, v[28:29], off offset:-4
	s_cbranch_vccnz .LBB0_98
.LBB0_100:                              ;   Parent Loop BB0_4 Depth=1
                                        ;     Parent Loop BB0_99 Depth=2
                                        ; =>    This Inner Loop Header: Depth=3
	s_clause 0x1
	global_load_b32 v32, v1, s[66:67]
	global_load_b32 v29, v1, s[64:65]
	global_load_b32 v33, v[30:31], off offset:-4
	s_wait_loadcnt 0x3
	v_mov_b32_e32 v34, v28
	v_add_nc_u64_e32 v[38:39], -4, v[30:31]
	s_add_co_i32 s69, s69, -1
	s_wait_xcnt 0x2
	s_add_nc_u64 s[66:67], s[66:67], -4
	s_cmp_eq_u32 s69, 0
	s_wait_xcnt 0x1
	s_add_nc_u64 s[64:65], s[64:65], -4
	s_wait_loadcnt 0x2
	v_mov_b32_e32 v35, v32
	s_wait_loadcnt 0x0
	v_pk_mul_f32 v[36:37], v[28:29], v[32:33]
	s_delay_alu instid0(VALU_DEP_1) | instskip(NEXT) | instid1(VALU_DEP_1)
	v_dual_mov_b32 v32, v29 :: v_dual_sub_f32 v25, v36, v37
	v_pk_mul_f32 v[28:29], v[34:35], v[32:33]
	global_store_b32 v[30:31], v25, off
	s_wait_xcnt 0x0
	v_mov_b64_e32 v[30:31], v[38:39]
	v_add_f32_e32 v28, v28, v29
	s_cbranch_scc0 .LBB0_100
	s_branch .LBB0_98
.LBB0_101:                              ;   in Loop: Header=BB0_4 Depth=1
	s_or_b32 exec_lo, exec_lo, s47
.LBB0_102:                              ;   in Loop: Header=BB0_4 Depth=1
	s_cbranch_execnz .LBB0_3
.LBB0_103:                              ;   in Loop: Header=BB0_4 Depth=1
	s_and_saveexec_b32 s47, s1
	s_cbranch_execz .LBB0_2
; %bb.104:                              ;   in Loop: Header=BB0_4 Depth=1
	v_mov_b32_e32 v22, v0
	s_lshl_b64 s[58:59], s[30:31], 2
	s_mov_b32 s64, 0
	s_add_nc_u64 s[58:59], s[56:57], s[58:59]
	s_branch .LBB0_106
.LBB0_105:                              ;   in Loop: Header=BB0_106 Depth=2
	v_add_nc_u32_e32 v22, s12, v22
	v_add_nc_u64_e32 v[20:21], s[50:51], v[20:21]
	v_lshl_add_u64 v[24:25], v[24:25], 2, s[58:59]
	s_delay_alu instid0(VALU_DEP_3)
	v_cmp_le_i32_e32 vcc_lo, s23, v22
	s_wait_loadcnt 0x0
	global_store_b32 v[24:25], v26, off offset:-4
	s_or_b32 s64, vcc_lo, s64
	s_wait_xcnt 0x0
	s_and_not1_b32 exec_lo, exec_lo, s64
	s_cbranch_execz .LBB0_2
.LBB0_106:                              ;   Parent Loop BB0_4 Depth=1
                                        ; =>  This Loop Header: Depth=2
                                        ;       Child Loop BB0_107 Depth 3
	v_ashrrev_i32_e32 v23, 31, v22
	v_mov_b64_e32 v[28:29], v[20:21]
	s_and_not1_b32 vcc_lo, exec_lo, s88
	s_mov_b64 s[60:61], s[54:55]
	s_mov_b64 s[62:63], s[52:53]
	v_mul_u64_e32 v[24:25], s[20:21], v[22:23]
	s_mov_b32 s65, s46
	s_delay_alu instid0(VALU_DEP_1)
	v_lshl_add_u64 v[26:27], v[24:25], 2, s[56:57]
	global_load_b32 v26, v[26:27], off
	s_cbranch_vccnz .LBB0_105
.LBB0_107:                              ;   Parent Loop BB0_4 Depth=1
                                        ;     Parent Loop BB0_106 Depth=2
                                        ; =>    This Inner Loop Header: Depth=3
	s_clause 0x1
	global_load_b32 v30, v1, s[62:63]
	global_load_b32 v27, v1, s[60:61]
	global_load_b32 v31, v[28:29], off
	s_wait_loadcnt 0x3
	v_mov_b32_e32 v33, v26
	s_add_co_i32 s65, s65, -1
	s_wait_xcnt 0x2
	s_add_nc_u64 s[62:63], s[62:63], 4
	s_cmp_eq_u32 s65, 0
	s_wait_xcnt 0x1
	s_add_nc_u64 s[60:61], s[60:61], 4
	s_wait_loadcnt 0x2
	v_mov_b32_e32 v32, v30
	s_wait_loadcnt 0x0
	v_pk_mul_f32 v[34:35], v[26:27], v[30:31]
	s_delay_alu instid0(VALU_DEP_1) | instskip(NEXT) | instid1(VALU_DEP_1)
	v_dual_mov_b32 v26, v31 :: v_dual_add_f32 v23, v34, v35
	v_pk_mul_f32 v[26:27], v[32:33], v[26:27]
	global_store_b32 v[28:29], v23, off offset:-4
	s_wait_xcnt 0x0
	v_add_nc_u64_e32 v[28:29], 4, v[28:29]
	v_sub_f32_e32 v26, v26, v27
	s_cbranch_scc0 .LBB0_107
	s_branch .LBB0_105
.LBB0_108:
	s_endpgm
	.section	.rodata,"a",@progbits
	.p2align	6, 0x0
	.amdhsa_kernel _ZN9rocsolver6v33100L11lasr_kernelIffPfiEEv13rocblas_side_14rocblas_pivot_15rocblas_direct_T2_S6_PT0_lS8_lT1_lS6_lS6_
		.amdhsa_group_segment_fixed_size 0
		.amdhsa_private_segment_fixed_size 0
		.amdhsa_kernarg_size 352
		.amdhsa_user_sgpr_count 2
		.amdhsa_user_sgpr_dispatch_ptr 0
		.amdhsa_user_sgpr_queue_ptr 0
		.amdhsa_user_sgpr_kernarg_segment_ptr 1
		.amdhsa_user_sgpr_dispatch_id 0
		.amdhsa_user_sgpr_kernarg_preload_length 0
		.amdhsa_user_sgpr_kernarg_preload_offset 0
		.amdhsa_user_sgpr_private_segment_size 0
		.amdhsa_wavefront_size32 1
		.amdhsa_uses_dynamic_stack 0
		.amdhsa_enable_private_segment 0
		.amdhsa_system_sgpr_workgroup_id_x 1
		.amdhsa_system_sgpr_workgroup_id_y 0
		.amdhsa_system_sgpr_workgroup_id_z 1
		.amdhsa_system_sgpr_workgroup_info 0
		.amdhsa_system_vgpr_workitem_id 0
		.amdhsa_next_free_vgpr 42
		.amdhsa_next_free_sgpr 91
		.amdhsa_named_barrier_count 0
		.amdhsa_reserve_vcc 1
		.amdhsa_float_round_mode_32 0
		.amdhsa_float_round_mode_16_64 0
		.amdhsa_float_denorm_mode_32 3
		.amdhsa_float_denorm_mode_16_64 3
		.amdhsa_fp16_overflow 0
		.amdhsa_memory_ordered 1
		.amdhsa_forward_progress 1
		.amdhsa_inst_pref_size 35
		.amdhsa_round_robin_scheduling 0
		.amdhsa_exception_fp_ieee_invalid_op 0
		.amdhsa_exception_fp_denorm_src 0
		.amdhsa_exception_fp_ieee_div_zero 0
		.amdhsa_exception_fp_ieee_overflow 0
		.amdhsa_exception_fp_ieee_underflow 0
		.amdhsa_exception_fp_ieee_inexact 0
		.amdhsa_exception_int_div_zero 0
	.end_amdhsa_kernel
	.section	.text._ZN9rocsolver6v33100L11lasr_kernelIffPfiEEv13rocblas_side_14rocblas_pivot_15rocblas_direct_T2_S6_PT0_lS8_lT1_lS6_lS6_,"axG",@progbits,_ZN9rocsolver6v33100L11lasr_kernelIffPfiEEv13rocblas_side_14rocblas_pivot_15rocblas_direct_T2_S6_PT0_lS8_lT1_lS6_lS6_,comdat
.Lfunc_end0:
	.size	_ZN9rocsolver6v33100L11lasr_kernelIffPfiEEv13rocblas_side_14rocblas_pivot_15rocblas_direct_T2_S6_PT0_lS8_lT1_lS6_lS6_, .Lfunc_end0-_ZN9rocsolver6v33100L11lasr_kernelIffPfiEEv13rocblas_side_14rocblas_pivot_15rocblas_direct_T2_S6_PT0_lS8_lT1_lS6_lS6_
                                        ; -- End function
	.set _ZN9rocsolver6v33100L11lasr_kernelIffPfiEEv13rocblas_side_14rocblas_pivot_15rocblas_direct_T2_S6_PT0_lS8_lT1_lS6_lS6_.num_vgpr, 42
	.set _ZN9rocsolver6v33100L11lasr_kernelIffPfiEEv13rocblas_side_14rocblas_pivot_15rocblas_direct_T2_S6_PT0_lS8_lT1_lS6_lS6_.num_agpr, 0
	.set _ZN9rocsolver6v33100L11lasr_kernelIffPfiEEv13rocblas_side_14rocblas_pivot_15rocblas_direct_T2_S6_PT0_lS8_lT1_lS6_lS6_.numbered_sgpr, 91
	.set _ZN9rocsolver6v33100L11lasr_kernelIffPfiEEv13rocblas_side_14rocblas_pivot_15rocblas_direct_T2_S6_PT0_lS8_lT1_lS6_lS6_.num_named_barrier, 0
	.set _ZN9rocsolver6v33100L11lasr_kernelIffPfiEEv13rocblas_side_14rocblas_pivot_15rocblas_direct_T2_S6_PT0_lS8_lT1_lS6_lS6_.private_seg_size, 0
	.set _ZN9rocsolver6v33100L11lasr_kernelIffPfiEEv13rocblas_side_14rocblas_pivot_15rocblas_direct_T2_S6_PT0_lS8_lT1_lS6_lS6_.uses_vcc, 1
	.set _ZN9rocsolver6v33100L11lasr_kernelIffPfiEEv13rocblas_side_14rocblas_pivot_15rocblas_direct_T2_S6_PT0_lS8_lT1_lS6_lS6_.uses_flat_scratch, 0
	.set _ZN9rocsolver6v33100L11lasr_kernelIffPfiEEv13rocblas_side_14rocblas_pivot_15rocblas_direct_T2_S6_PT0_lS8_lT1_lS6_lS6_.has_dyn_sized_stack, 0
	.set _ZN9rocsolver6v33100L11lasr_kernelIffPfiEEv13rocblas_side_14rocblas_pivot_15rocblas_direct_T2_S6_PT0_lS8_lT1_lS6_lS6_.has_recursion, 0
	.set _ZN9rocsolver6v33100L11lasr_kernelIffPfiEEv13rocblas_side_14rocblas_pivot_15rocblas_direct_T2_S6_PT0_lS8_lT1_lS6_lS6_.has_indirect_call, 0
	.section	.AMDGPU.csdata,"",@progbits
; Kernel info:
; codeLenInByte = 4396
; TotalNumSgprs: 93
; NumVgprs: 42
; ScratchSize: 0
; MemoryBound: 0
; FloatMode: 240
; IeeeMode: 1
; LDSByteSize: 0 bytes/workgroup (compile time only)
; SGPRBlocks: 0
; VGPRBlocks: 2
; NumSGPRsForWavesPerEU: 93
; NumVGPRsForWavesPerEU: 42
; NamedBarCnt: 0
; Occupancy: 16
; WaveLimiterHint : 0
; COMPUTE_PGM_RSRC2:SCRATCH_EN: 0
; COMPUTE_PGM_RSRC2:USER_SGPR: 2
; COMPUTE_PGM_RSRC2:TRAP_HANDLER: 0
; COMPUTE_PGM_RSRC2:TGID_X_EN: 1
; COMPUTE_PGM_RSRC2:TGID_Y_EN: 0
; COMPUTE_PGM_RSRC2:TGID_Z_EN: 1
; COMPUTE_PGM_RSRC2:TIDIG_COMP_CNT: 0
	.section	.text._ZN9rocsolver6v33100L11lasr_kernelIddPdiEEv13rocblas_side_14rocblas_pivot_15rocblas_direct_T2_S6_PT0_lS8_lT1_lS6_lS6_,"axG",@progbits,_ZN9rocsolver6v33100L11lasr_kernelIddPdiEEv13rocblas_side_14rocblas_pivot_15rocblas_direct_T2_S6_PT0_lS8_lT1_lS6_lS6_,comdat
	.globl	_ZN9rocsolver6v33100L11lasr_kernelIddPdiEEv13rocblas_side_14rocblas_pivot_15rocblas_direct_T2_S6_PT0_lS8_lT1_lS6_lS6_ ; -- Begin function _ZN9rocsolver6v33100L11lasr_kernelIddPdiEEv13rocblas_side_14rocblas_pivot_15rocblas_direct_T2_S6_PT0_lS8_lT1_lS6_lS6_
	.p2align	8
	.type	_ZN9rocsolver6v33100L11lasr_kernelIddPdiEEv13rocblas_side_14rocblas_pivot_15rocblas_direct_T2_S6_PT0_lS8_lT1_lS6_lS6_,@function
_ZN9rocsolver6v33100L11lasr_kernelIddPdiEEv13rocblas_side_14rocblas_pivot_15rocblas_direct_T2_S6_PT0_lS8_lT1_lS6_lS6_: ; @_ZN9rocsolver6v33100L11lasr_kernelIddPdiEEv13rocblas_side_14rocblas_pivot_15rocblas_direct_T2_S6_PT0_lS8_lT1_lS6_lS6_
; %bb.0:
	s_load_b32 s33, s[0:1], 0x58
	s_bfe_u32 s2, ttmp6, 0x40014
	s_lshr_b32 s3, ttmp7, 16
	s_add_co_i32 s2, s2, 1
	s_bfe_u32 s5, ttmp6, 0x40008
	s_mul_i32 s2, s3, s2
	s_getreg_b32 s4, hwreg(HW_REG_IB_STS2, 6, 4)
	s_add_co_i32 s5, s5, s2
	s_cmp_eq_u32 s4, 0
	s_cselect_b32 s2, s3, s5
	s_mov_b32 s3, 0
	s_wait_kmcnt 0x0
	s_cmp_ge_u32 s2, s33
	s_cbranch_scc1 .LBB1_108
; %bb.1:
	s_clause 0x3
	s_load_b32 s20, s[0:1], 0x48
	s_load_b64 s[22:23], s[0:1], 0x68
	s_load_b128 s[16:19], s[0:1], 0x38
	s_load_b128 s[12:15], s[0:1], 0x0
	s_bfe_u32 s5, ttmp6, 0x4000c
	s_and_b32 s6, ttmp6, 15
	s_add_co_i32 s5, s5, 1
	s_load_b32 s24, s[0:1], 0x60
	s_mul_i32 s5, ttmp9, s5
	s_mov_b32 s37, s3
	s_add_co_i32 s6, s6, s5
	s_mov_b32 s49, s3
	s_wait_kmcnt 0x0
	s_ashr_i32 s21, s20, 31
	s_and_b32 s25, s23, 0xffff
	s_cmp_eq_u32 s4, 0
	s_load_b32 s23, s[0:1], 0x10
	s_cselect_b32 s26, ttmp9, s6
	s_lshl_b64 s[46:47], s[18:19], 3
	v_mad_u32 v0, s26, s25, v0
	s_cmp_eq_u32 s12, 0x8d
	s_load_b64 s[18:19], s[0:1], 0x50
	s_cselect_b32 s27, -1, 0
	s_cmp_eq_u32 s12, 0x8e
	s_load_b256 s[4:11], s[0:1], 0x18
	s_cselect_b32 s28, -1, 0
	s_cmp_eq_u32 s13, 0x119
	s_mul_i32 s12, s24, s25
	s_cselect_b32 s29, -1, 0
	s_cmp_eq_u32 s13, 0x11b
	v_ashrrev_i32_e32 v1, 31, v0
	s_wait_xcnt 0x0
	s_cselect_b32 s0, -1, 0
	s_cmp_eq_u32 s13, 0x11a
	s_add_nc_u64 s[24:25], s[16:17], s[46:47]
	s_cselect_b32 s1, -1, 0
	v_mul_u64_e32 v[8:9], s[20:21], v[0:1]
	s_cmp_eq_u32 s14, 0xab
	v_lshlrev_b64_e32 v[10:11], 3, v[0:1]
	s_cselect_b32 s13, -1, 0
	s_cmp_eq_u32 s14, 0xac
	v_mov_b32_e32 v1, 0
	s_cselect_b32 s30, -1, 0
	s_and_b32 s26, s27, s1
	s_and_b32 s14, s27, s29
	s_and_b32 s35, s26, s13
	s_and_b32 s26, s26, s30
	s_and_b32 s31, s14, s13
	s_and_b32 s27, s27, s0
	s_xor_b32 s78, s26, -1
	s_and_b32 s26, s28, s29
	s_and_b32 s1, s28, s1
	;; [unrolled: 1-line block ×3, first 2 shown]
	v_cmp_gt_i32_e64 s0, s15, v0
	s_and_b32 s34, s14, s30
	s_xor_b32 s14, s31, -1
	s_and_b32 s31, s27, s13
	s_and_b32 s27, s27, s30
	;; [unrolled: 1-line block ×3, first 2 shown]
	s_xor_b32 s80, s27, -1
	s_and_b32 s26, s26, s30
	s_and_b32 s27, s1, s13
	;; [unrolled: 1-line block ×3, first 2 shown]
	s_xor_b32 s82, s26, -1
	s_and_b32 s13, s28, s13
	s_xor_b32 s84, s1, -1
	s_wait_kmcnt 0x0
	s_add_co_i32 s26, s23, -1
	s_and_b32 s1, s30, s0
	s_xor_b32 s76, s34, -1
	s_xor_b32 s77, s35, -1
	;; [unrolled: 1-line block ×6, first 2 shown]
	s_ashr_i32 s27, s26, 31
	s_and_b32 s86, s28, s1
	s_add_co_i32 s36, s23, -2
	s_cmp_gt_i32 s23, 1
	s_mul_u64 s[28:29], s[20:21], s[26:27]
	s_mov_b32 s27, s3
	s_cselect_b32 s87, -1, 0
	s_ashr_i32 s31, s15, 31
	s_add_co_i32 s48, s15, -2
	s_cmp_gt_i32 s15, 1
	s_mul_u64 s[50:51], s[20:21], s[26:27]
	s_cselect_b32 s88, -1, 0
	s_lshl_b64 s[50:51], s[50:51], 3
	s_lshl_b64 s[42:43], s[20:21], 3
	s_add_nc_u64 s[50:51], s[50:51], s[46:47]
	s_lshl_b64 s[38:39], s[36:37], 3
	s_mul_u64 s[36:37], s[20:21], s[36:37]
	s_add_nc_u64 s[50:51], s[16:17], s[50:51]
	s_add_nc_u64 s[52:53], s[46:47], s[42:43]
	s_lshl_b64 s[36:37], s[36:37], 3
	v_add_nc_u64_e32 v[6:7], s[50:51], v[10:11]
	s_add_nc_u64 s[50:51], s[16:17], s[52:53]
	v_lshl_add_u64 v[14:15], v[8:9], 3, s[46:47]
	s_add_nc_u64 s[40:41], s[36:37], s[46:47]
	v_add_nc_u64_e32 v[8:9], s[50:51], v[10:11]
	s_lshl_b64 s[50:51], s[48:49], 3
	s_add_nc_u64 s[34:35], s[4:5], s[38:39]
	s_add_nc_u64 s[36:37], s[8:9], s[38:39]
	;; [unrolled: 1-line block ×4, first 2 shown]
	v_add_nc_u64_e32 v[2:3], s[38:39], v[10:11]
	v_add_nc_u64_e32 v[4:5], s[24:25], v[10:11]
	;; [unrolled: 1-line block ×4, first 2 shown]
	s_add_co_i32 s46, s15, -1
	s_mov_b32 s47, s3
	s_ashr_i32 s13, s12, 31
	s_lshl_b64 s[52:53], s[46:47], 3
	v_cmp_gt_i32_e64 s1, s23, v0
	s_add_nc_u64 s[16:17], s[16:17], s[52:53]
	v_add_nc_u64_e32 v[16:17], 8, v[10:11]
	v_add_nc_u64_e32 v[14:15], s[16:17], v[14:15]
	;; [unrolled: 1-line block ×3, first 2 shown]
	s_mul_u64 s[52:53], s[20:21], s[12:13]
	s_mov_b32 s30, s15
	s_lshl_b64 s[6:7], s[6:7], 3
	s_lshl_b64 s[10:11], s[10:11], 3
	s_lshl_b64 s[38:39], s[18:19], 3
	s_lshl_b64 s[40:41], s[12:13], 3
	s_sub_nc_u64 s[44:45], 0, s[42:43]
	s_add_co_i32 s27, s23, 1
	s_add_nc_u64 s[48:49], s[4:5], s[50:51]
	s_add_nc_u64 s[16:17], s[8:9], s[50:51]
	s_lshl_b64 s[50:51], s[52:53], 3
	s_add_co_i32 s13, s15, 1
	s_branch .LBB1_4
.LBB1_2:                                ;   in Loop: Header=BB1_4 Depth=1
	s_or_b32 exec_lo, exec_lo, s47
.LBB1_3:                                ;   in Loop: Header=BB1_4 Depth=1
	s_add_co_i32 s2, s2, s22
	s_delay_alu instid0(SALU_CYCLE_1)
	s_cmp_ge_u32 s2, s33
	s_cbranch_scc1 .LBB1_108
.LBB1_4:                                ; =>This Loop Header: Depth=1
                                        ;     Child Loop BB1_19 Depth 2
                                        ;       Child Loop BB1_20 Depth 3
                                        ;     Child Loop BB1_26 Depth 2
                                        ;       Child Loop BB1_27 Depth 3
	;; [unrolled: 2-line block ×12, first 2 shown]
	s_mul_u64 s[62:63], s[38:39], s[2:3]
	s_mul_u64 s[54:55], s[18:19], s[2:3]
	v_add_nc_u64_e32 v[20:21], s[62:63], v[16:17]
	s_mul_u64 s[64:65], s[6:7], s[2:3]
	s_mul_u64 s[66:67], s[10:11], s[2:3]
	s_lshl_b64 s[56:57], s[54:55], 3
	s_add_nc_u64 s[52:53], s[4:5], s[64:65]
	s_add_nc_u64 s[54:55], s[8:9], s[66:67]
	;; [unrolled: 1-line block ×3, first 2 shown]
	s_and_b32 vcc_lo, exec_lo, s14
	s_mov_b32 s47, -1
	s_cbranch_vccnz .LBB1_6
; %bb.5:                                ;   in Loop: Header=BB1_4 Depth=1
	s_and_not1_b32 vcc_lo, exec_lo, s47
	s_cbranch_vccnz .LBB1_3
	s_branch .LBB1_103
.LBB1_6:                                ;   in Loop: Header=BB1_4 Depth=1
	s_add_nc_u64 s[58:59], s[48:49], s[64:65]
	s_add_nc_u64 s[60:61], s[16:17], s[66:67]
	s_and_b32 vcc_lo, exec_lo, s76
	s_cbranch_vccz .LBB1_95
; %bb.7:                                ;   in Loop: Header=BB1_4 Depth=1
	s_and_b32 vcc_lo, exec_lo, s77
	s_cbranch_vccz .LBB1_87
; %bb.8:                                ;   in Loop: Header=BB1_4 Depth=1
	;; [unrolled: 3-line block ×3, first 2 shown]
	s_and_b32 vcc_lo, exec_lo, s79
	s_cbranch_vccz .LBB1_71
; %bb.10:                               ;   in Loop: Header=BB1_4 Depth=1
	s_and_b32 vcc_lo, exec_lo, s80
	s_cbranch_vccz .LBB1_63
; %bb.11:                               ;   in Loop: Header=BB1_4 Depth=1
	v_add_nc_u64_e32 v[22:23], s[62:63], v[4:5]
	s_and_b32 vcc_lo, exec_lo, s81
	s_cbranch_vccz .LBB1_55
; %bb.12:                               ;   in Loop: Header=BB1_4 Depth=1
	v_add_nc_u64_e32 v[24:25], s[62:63], v[6:7]
	v_add_nc_u64_e32 v[26:27], s[62:63], v[2:3]
	s_add_nc_u64 s[64:65], s[34:35], s[64:65]
	s_add_nc_u64 s[66:67], s[36:37], s[66:67]
	s_and_b32 vcc_lo, exec_lo, s82
	s_cbranch_vccz .LBB1_46
; %bb.13:                               ;   in Loop: Header=BB1_4 Depth=1
	s_and_b32 vcc_lo, exec_lo, s83
	s_cbranch_vccz .LBB1_38
; %bb.14:                               ;   in Loop: Header=BB1_4 Depth=1
	;; [unrolled: 3-line block ×4, first 2 shown]
	s_and_saveexec_b32 s47, s86
	s_cbranch_execz .LBB1_21
; %bb.17:                               ;   in Loop: Header=BB1_4 Depth=1
	v_mov_b64_e32 v[28:29], v[26:27]
	v_mov_b32_e32 v30, v0
	s_lshl_b64 s[68:69], s[28:29], 3
	s_mov_b32 s74, 0
	s_add_nc_u64 s[68:69], s[56:57], s[68:69]
	s_branch .LBB1_19
.LBB1_18:                               ;   in Loop: Header=BB1_19 Depth=2
	v_ashrrev_i32_e32 v31, 31, v30
	v_add_nc_u64_e32 v[28:29], s[40:41], v[28:29]
	s_delay_alu instid0(VALU_DEP_2)
	v_lshl_add_u64 v[34:35], v[30:31], 3, s[68:69]
	s_wait_xcnt 0x0
	v_add_nc_u32_e32 v30, s12, v30
	s_wait_loadcnt 0x0
	global_store_b64 v[34:35], v[32:33], off
	v_cmp_le_i32_e32 vcc_lo, s15, v30
	s_or_b32 s74, vcc_lo, s74
	s_wait_xcnt 0x0
	s_and_not1_b32 exec_lo, exec_lo, s74
	s_cbranch_execz .LBB1_21
.LBB1_19:                               ;   Parent Loop BB1_4 Depth=1
                                        ; =>  This Loop Header: Depth=2
                                        ;       Child Loop BB1_20 Depth 3
	global_load_b64 v[32:33], v30, s[68:69] scale_offset
	v_mov_b64_e32 v[34:35], v[28:29]
	s_and_not1_b32 vcc_lo, exec_lo, s87
	s_mov_b64 s[70:71], s[66:67]
	s_mov_b64 s[72:73], s[64:65]
	s_mov_b32 s75, s26
	s_cbranch_vccnz .LBB1_18
.LBB1_20:                               ;   Parent Loop BB1_4 Depth=1
                                        ;     Parent Loop BB1_19 Depth=2
                                        ; =>    This Inner Loop Header: Depth=3
	global_load_b64 v[36:37], v[34:35], off
	s_clause 0x1
	global_load_b64 v[38:39], v1, s[72:73]
	global_load_b64 v[40:41], v1, s[70:71]
	s_add_co_i32 s75, s75, -1
	s_wait_xcnt 0x1
	s_add_nc_u64 s[72:73], s[72:73], -8
	s_cmp_eq_u32 s75, 0
	s_wait_xcnt 0x0
	s_add_nc_u64 s[70:71], s[70:71], -8
	s_wait_loadcnt 0x1
	v_mul_f64_e32 v[42:43], v[38:39], v[36:37]
	s_wait_loadcnt 0x0
	v_mul_f64_e32 v[36:37], v[40:41], v[36:37]
	s_delay_alu instid0(VALU_DEP_2) | instskip(NEXT) | instid1(VALU_DEP_2)
	v_fmac_f64_e32 v[42:43], v[32:33], v[40:41]
	v_fma_f64 v[32:33], v[32:33], v[38:39], -v[36:37]
	global_store_b64 v[34:35], v[42:43], off
	s_wait_xcnt 0x0
	v_add_nc_u64_e32 v[34:35], s[44:45], v[34:35]
	s_cbranch_scc0 .LBB1_20
	s_branch .LBB1_18
.LBB1_21:                               ;   in Loop: Header=BB1_4 Depth=1
	s_or_b32 exec_lo, exec_lo, s47
	s_mov_b32 s47, 0
.LBB1_22:                               ;   in Loop: Header=BB1_4 Depth=1
	s_delay_alu instid0(SALU_CYCLE_1)
	s_and_not1_b32 vcc_lo, exec_lo, s47
	s_cbranch_vccnz .LBB1_29
; %bb.23:                               ;   in Loop: Header=BB1_4 Depth=1
	s_and_saveexec_b32 s47, s0
	s_cbranch_execz .LBB1_28
; %bb.24:                               ;   in Loop: Header=BB1_4 Depth=1
	v_mov_b64_e32 v[28:29], v[22:23]
	v_mov_b32_e32 v30, v0
	s_lshl_b64 s[68:69], s[28:29], 3
	s_mov_b32 s74, 0
	s_add_nc_u64 s[68:69], s[56:57], s[68:69]
	s_branch .LBB1_26
.LBB1_25:                               ;   in Loop: Header=BB1_26 Depth=2
	v_ashrrev_i32_e32 v31, 31, v30
	v_add_nc_u64_e32 v[28:29], s[40:41], v[28:29]
	s_delay_alu instid0(VALU_DEP_2)
	v_lshl_add_u64 v[34:35], v[30:31], 3, s[68:69]
	s_wait_xcnt 0x0
	v_add_nc_u32_e32 v30, s12, v30
	s_wait_loadcnt 0x0
	global_store_b64 v[34:35], v[32:33], off
	v_cmp_le_i32_e32 vcc_lo, s15, v30
	s_or_b32 s74, vcc_lo, s74
	s_wait_xcnt 0x0
	s_and_not1_b32 exec_lo, exec_lo, s74
	s_cbranch_execz .LBB1_28
.LBB1_26:                               ;   Parent Loop BB1_4 Depth=1
                                        ; =>  This Loop Header: Depth=2
                                        ;       Child Loop BB1_27 Depth 3
	global_load_b64 v[32:33], v30, s[68:69] scale_offset
	v_mov_b64_e32 v[34:35], v[28:29]
	s_and_not1_b32 vcc_lo, exec_lo, s87
	s_mov_b64 s[70:71], s[54:55]
	s_mov_b64 s[72:73], s[52:53]
	s_mov_b32 s75, s26
	s_cbranch_vccnz .LBB1_25
.LBB1_27:                               ;   Parent Loop BB1_4 Depth=1
                                        ;     Parent Loop BB1_26 Depth=2
                                        ; =>    This Inner Loop Header: Depth=3
	global_load_b64 v[36:37], v[34:35], off
	s_clause 0x1
	global_load_b64 v[38:39], v1, s[72:73]
	global_load_b64 v[40:41], v1, s[70:71]
	s_add_co_i32 s75, s75, -1
	s_wait_xcnt 0x1
	s_add_nc_u64 s[72:73], s[72:73], 8
	s_cmp_eq_u32 s75, 0
	s_wait_xcnt 0x0
	s_add_nc_u64 s[70:71], s[70:71], 8
	s_wait_loadcnt 0x1
	v_mul_f64_e32 v[42:43], v[38:39], v[36:37]
	s_wait_loadcnt 0x0
	v_mul_f64_e32 v[36:37], v[40:41], v[36:37]
	s_delay_alu instid0(VALU_DEP_2) | instskip(NEXT) | instid1(VALU_DEP_2)
	v_fmac_f64_e32 v[42:43], v[32:33], v[40:41]
	v_fma_f64 v[32:33], v[32:33], v[38:39], -v[36:37]
	global_store_b64 v[34:35], v[42:43], off
	s_wait_xcnt 0x0
	v_add_nc_u64_e32 v[34:35], s[42:43], v[34:35]
	s_cbranch_scc0 .LBB1_27
	s_branch .LBB1_25
.LBB1_28:                               ;   in Loop: Header=BB1_4 Depth=1
	s_or_b32 exec_lo, exec_lo, s47
.LBB1_29:                               ;   in Loop: Header=BB1_4 Depth=1
	s_mov_b32 s47, 0
.LBB1_30:                               ;   in Loop: Header=BB1_4 Depth=1
	s_delay_alu instid0(SALU_CYCLE_1)
	s_and_not1_b32 vcc_lo, exec_lo, s47
	s_cbranch_vccnz .LBB1_37
; %bb.31:                               ;   in Loop: Header=BB1_4 Depth=1
	s_and_saveexec_b32 s47, s0
	s_cbranch_execz .LBB1_36
; %bb.32:                               ;   in Loop: Header=BB1_4 Depth=1
	v_mov_b64_e32 v[28:29], v[24:25]
	v_mov_b32_e32 v30, v0
	s_mov_b32 s72, 0
	s_branch .LBB1_34
.LBB1_33:                               ;   in Loop: Header=BB1_34 Depth=2
	v_ashrrev_i32_e32 v31, 31, v30
	v_add_nc_u64_e32 v[28:29], s[40:41], v[28:29]
	s_delay_alu instid0(VALU_DEP_2)
	v_lshl_add_u64 v[34:35], v[30:31], 3, s[56:57]
	s_wait_xcnt 0x0
	v_add_nc_u32_e32 v30, s12, v30
	s_wait_loadcnt 0x0
	global_store_b64 v[34:35], v[32:33], off
	v_cmp_le_i32_e32 vcc_lo, s15, v30
	s_or_b32 s72, vcc_lo, s72
	s_wait_xcnt 0x0
	s_and_not1_b32 exec_lo, exec_lo, s72
	s_cbranch_execz .LBB1_36
.LBB1_34:                               ;   Parent Loop BB1_4 Depth=1
                                        ; =>  This Loop Header: Depth=2
                                        ;       Child Loop BB1_35 Depth 3
	global_load_b64 v[32:33], v30, s[56:57] scale_offset
	v_mov_b64_e32 v[34:35], v[28:29]
	s_and_not1_b32 vcc_lo, exec_lo, s87
	s_mov_b64 s[68:69], s[66:67]
	s_mov_b64 s[70:71], s[64:65]
	s_mov_b32 s73, s27
	s_cbranch_vccnz .LBB1_33
.LBB1_35:                               ;   Parent Loop BB1_4 Depth=1
                                        ;     Parent Loop BB1_34 Depth=2
                                        ; =>    This Inner Loop Header: Depth=3
	s_clause 0x1
	global_load_b64 v[36:37], v1, s[68:69]
	global_load_b64 v[38:39], v1, s[70:71]
	global_load_b64 v[40:41], v[34:35], off
	s_wait_loadcnt 0x3
	v_mov_b64_e32 v[42:43], v[32:33]
	s_add_co_i32 s73, s73, -1
	s_wait_xcnt 0x1
	s_add_nc_u64 s[70:71], s[70:71], -8
	s_cmp_lt_u32 s73, 3
	s_add_nc_u64 s[68:69], s[68:69], -8
	s_wait_loadcnt 0x2
	v_mul_f64_e32 v[44:45], v[42:43], v[36:37]
	s_wait_loadcnt 0x0
	v_mul_f64_e32 v[32:33], v[36:37], v[40:41]
	s_delay_alu instid0(VALU_DEP_2) | instskip(NEXT) | instid1(VALU_DEP_2)
	v_fma_f64 v[36:37], v[38:39], v[40:41], -v[44:45]
	v_fmac_f64_e32 v[32:33], v[42:43], v[38:39]
	global_store_b64 v[34:35], v[36:37], off
	s_wait_xcnt 0x0
	v_add_nc_u64_e32 v[34:35], s[44:45], v[34:35]
	s_cbranch_scc0 .LBB1_35
	s_branch .LBB1_33
.LBB1_36:                               ;   in Loop: Header=BB1_4 Depth=1
	s_or_b32 exec_lo, exec_lo, s47
.LBB1_37:                               ;   in Loop: Header=BB1_4 Depth=1
	s_mov_b32 s47, 0
.LBB1_38:                               ;   in Loop: Header=BB1_4 Depth=1
	s_delay_alu instid0(SALU_CYCLE_1)
	s_and_not1_b32 vcc_lo, exec_lo, s47
	s_cbranch_vccnz .LBB1_45
; %bb.39:                               ;   in Loop: Header=BB1_4 Depth=1
	s_and_saveexec_b32 s47, s0
	s_cbranch_execz .LBB1_44
; %bb.40:                               ;   in Loop: Header=BB1_4 Depth=1
	v_add_nc_u64_e32 v[28:29], s[62:63], v[8:9]
	v_mov_b32_e32 v30, v0
	s_mov_b32 s72, 0
	s_branch .LBB1_42
.LBB1_41:                               ;   in Loop: Header=BB1_42 Depth=2
	v_ashrrev_i32_e32 v31, 31, v30
	v_add_nc_u64_e32 v[28:29], s[40:41], v[28:29]
	s_delay_alu instid0(VALU_DEP_2)
	v_lshl_add_u64 v[34:35], v[30:31], 3, s[56:57]
	s_wait_xcnt 0x0
	v_add_nc_u32_e32 v30, s12, v30
	s_wait_loadcnt 0x0
	global_store_b64 v[34:35], v[32:33], off
	v_cmp_le_i32_e32 vcc_lo, s15, v30
	s_or_b32 s72, vcc_lo, s72
	s_wait_xcnt 0x0
	s_and_not1_b32 exec_lo, exec_lo, s72
	s_cbranch_execz .LBB1_44
.LBB1_42:                               ;   Parent Loop BB1_4 Depth=1
                                        ; =>  This Loop Header: Depth=2
                                        ;       Child Loop BB1_43 Depth 3
	global_load_b64 v[32:33], v30, s[56:57] scale_offset
	v_mov_b64_e32 v[34:35], v[28:29]
	s_and_not1_b32 vcc_lo, exec_lo, s87
	s_mov_b32 s73, s26
	s_mov_b64 s[68:69], s[52:53]
	s_mov_b64 s[70:71], s[54:55]
	s_cbranch_vccnz .LBB1_41
.LBB1_43:                               ;   Parent Loop BB1_4 Depth=1
                                        ;     Parent Loop BB1_42 Depth=2
                                        ; =>    This Inner Loop Header: Depth=3
	s_clause 0x1
	global_load_b64 v[36:37], v1, s[70:71]
	global_load_b64 v[38:39], v1, s[68:69]
	global_load_b64 v[40:41], v[34:35], off
	s_wait_loadcnt 0x3
	v_mov_b64_e32 v[42:43], v[32:33]
	s_add_co_i32 s73, s73, -1
	s_wait_xcnt 0x2
	s_add_nc_u64 s[70:71], s[70:71], 8
	s_cmp_eq_u32 s73, 0
	s_wait_xcnt 0x1
	s_add_nc_u64 s[68:69], s[68:69], 8
	s_wait_loadcnt 0x2
	v_mul_f64_e32 v[44:45], v[42:43], v[36:37]
	s_wait_loadcnt 0x0
	v_mul_f64_e32 v[32:33], v[36:37], v[40:41]
	s_delay_alu instid0(VALU_DEP_2) | instskip(NEXT) | instid1(VALU_DEP_2)
	v_fma_f64 v[36:37], v[38:39], v[40:41], -v[44:45]
	v_fmac_f64_e32 v[32:33], v[42:43], v[38:39]
	global_store_b64 v[34:35], v[36:37], off
	s_wait_xcnt 0x0
	v_add_nc_u64_e32 v[34:35], s[42:43], v[34:35]
	s_cbranch_scc0 .LBB1_43
	s_branch .LBB1_41
.LBB1_44:                               ;   in Loop: Header=BB1_4 Depth=1
	s_or_b32 exec_lo, exec_lo, s47
.LBB1_45:                               ;   in Loop: Header=BB1_4 Depth=1
	s_mov_b32 s47, 0
.LBB1_46:                               ;   in Loop: Header=BB1_4 Depth=1
	s_delay_alu instid0(SALU_CYCLE_1)
	s_and_not1_b32 vcc_lo, exec_lo, s47
	s_cbranch_vccnz .LBB1_54
; %bb.47:                               ;   in Loop: Header=BB1_4 Depth=1
	s_and_saveexec_b32 s47, s0
	s_cbranch_execz .LBB1_53
; %bb.48:                               ;   in Loop: Header=BB1_4 Depth=1
	v_mov_b32_e32 v28, v0
	s_lshl_b64 s[68:69], s[28:29], 3
	s_mov_b32 s89, 0
	s_add_nc_u64 s[68:69], s[56:57], s[68:69]
	s_branch .LBB1_50
.LBB1_49:                               ;   in Loop: Header=BB1_50 Depth=2
	v_ashrrev_i32_e32 v29, 31, v28
	v_add_nc_u64_e32 v[24:25], s[40:41], v[24:25]
	v_add_nc_u64_e32 v[26:27], s[40:41], v[26:27]
	s_wait_xcnt 0x0
	s_delay_alu instid0(VALU_DEP_3)
	v_lshl_add_u64 v[32:33], v[28:29], 3, s[56:57]
	v_add_nc_u32_e32 v28, s12, v28
	s_wait_loadcnt 0x0
	global_store_b64 v[32:33], v[30:31], off
	v_cmp_le_i32_e32 vcc_lo, s15, v28
	s_or_b32 s89, vcc_lo, s89
	s_wait_xcnt 0x0
	s_and_not1_b32 exec_lo, exec_lo, s89
	s_cbranch_execz .LBB1_53
.LBB1_50:                               ;   Parent Loop BB1_4 Depth=1
                                        ; =>  This Loop Header: Depth=2
                                        ;       Child Loop BB1_52 Depth 3
	global_load_b64 v[30:31], v28, s[68:69] scale_offset
	s_and_not1_b32 vcc_lo, exec_lo, s87
	s_cbranch_vccnz .LBB1_49
; %bb.51:                               ;   in Loop: Header=BB1_50 Depth=2
	s_mov_b64 s[70:71], 0
	s_mov_b64 s[72:73], s[66:67]
	s_mov_b64 s[74:75], s[64:65]
	s_mov_b32 s90, s26
.LBB1_52:                               ;   Parent Loop BB1_4 Depth=1
                                        ;     Parent Loop BB1_50 Depth=2
                                        ; =>    This Inner Loop Header: Depth=3
	s_wait_xcnt 0x0
	v_add_nc_u64_e32 v[32:33], s[70:71], v[26:27]
	s_wait_loadcnt 0x0
	v_mov_b64_e32 v[38:39], v[30:31]
	s_add_co_i32 s90, s90, -1
	s_clause 0x1
	global_load_b64 v[34:35], v1, s[74:75]
	global_load_b64 v[36:37], v1, s[72:73]
	global_load_b64 v[32:33], v[32:33], off
	s_wait_xcnt 0x2
	s_add_nc_u64 s[74:75], s[74:75], -8
	s_cmp_eq_u32 s90, 0
	s_wait_xcnt 0x1
	s_add_nc_u64 s[72:73], s[72:73], -8
	s_wait_loadcnt 0x0
	v_mul_f64_e32 v[40:41], v[36:37], v[32:33]
	v_mul_f64_e32 v[30:31], v[34:35], v[32:33]
	s_wait_xcnt 0x0
	s_delay_alu instid0(VALU_DEP_2) | instskip(NEXT) | instid1(VALU_DEP_2)
	v_fma_f64 v[32:33], v[38:39], v[34:35], -v[40:41]
	v_fmac_f64_e32 v[30:31], v[38:39], v[36:37]
	v_add_nc_u64_e32 v[34:35], s[70:71], v[24:25]
	s_sub_nc_u64 s[70:71], s[70:71], s[42:43]
	global_store_b64 v[34:35], v[32:33], off
	s_cbranch_scc0 .LBB1_52
	s_branch .LBB1_49
.LBB1_53:                               ;   in Loop: Header=BB1_4 Depth=1
	s_or_b32 exec_lo, exec_lo, s47
.LBB1_54:                               ;   in Loop: Header=BB1_4 Depth=1
	s_mov_b32 s47, 0
.LBB1_55:                               ;   in Loop: Header=BB1_4 Depth=1
	s_delay_alu instid0(SALU_CYCLE_1)
	s_and_not1_b32 vcc_lo, exec_lo, s47
	s_cbranch_vccnz .LBB1_62
; %bb.56:                               ;   in Loop: Header=BB1_4 Depth=1
	s_and_saveexec_b32 s47, s0
	s_cbranch_execz .LBB1_61
; %bb.57:                               ;   in Loop: Header=BB1_4 Depth=1
	v_mov_b32_e32 v24, v0
	s_lshl_b64 s[64:65], s[28:29], 3
	s_mov_b32 s70, 0
	s_add_nc_u64 s[64:65], s[56:57], s[64:65]
	s_branch .LBB1_59
.LBB1_58:                               ;   in Loop: Header=BB1_59 Depth=2
	v_ashrrev_i32_e32 v25, 31, v24
	v_add_nc_u64_e32 v[22:23], s[40:41], v[22:23]
	s_delay_alu instid0(VALU_DEP_2)
	v_lshl_add_u64 v[28:29], v[24:25], 3, s[64:65]
	s_wait_xcnt 0x0
	v_add_nc_u32_e32 v24, s12, v24
	s_wait_loadcnt 0x0
	global_store_b64 v[28:29], v[26:27], off
	v_cmp_le_i32_e32 vcc_lo, s15, v24
	s_or_b32 s70, vcc_lo, s70
	s_wait_xcnt 0x0
	s_and_not1_b32 exec_lo, exec_lo, s70
	s_cbranch_execz .LBB1_61
.LBB1_59:                               ;   Parent Loop BB1_4 Depth=1
                                        ; =>  This Loop Header: Depth=2
                                        ;       Child Loop BB1_60 Depth 3
	global_load_b64 v[26:27], v24, s[56:57] scale_offset
	v_mov_b64_e32 v[28:29], v[22:23]
	s_and_not1_b32 vcc_lo, exec_lo, s87
	s_mov_b64 s[66:67], s[54:55]
	s_mov_b64 s[68:69], s[52:53]
	s_mov_b32 s71, s26
	s_cbranch_vccnz .LBB1_58
.LBB1_60:                               ;   Parent Loop BB1_4 Depth=1
                                        ;     Parent Loop BB1_59 Depth=2
                                        ; =>    This Inner Loop Header: Depth=3
	s_delay_alu instid0(VALU_DEP_1)
	v_add_nc_u64_e32 v[30:31], s[42:43], v[28:29]
	s_add_co_i32 s71, s71, -1
	global_load_b64 v[32:33], v[30:31], off
	s_clause 0x1
	global_load_b64 v[34:35], v1, s[66:67]
	global_load_b64 v[36:37], v1, s[68:69]
	s_wait_xcnt 0x0
	s_add_nc_u64 s[68:69], s[68:69], 8
	s_cmp_eq_u32 s71, 0
	s_add_nc_u64 s[66:67], s[66:67], 8
	s_wait_loadcnt 0x1
	v_mul_f64_e32 v[38:39], v[34:35], v[32:33]
	v_mul_f64_e32 v[34:35], v[26:27], v[34:35]
	s_wait_loadcnt 0x0
	s_delay_alu instid0(VALU_DEP_2) | instskip(NEXT) | instid1(VALU_DEP_2)
	v_fmac_f64_e32 v[38:39], v[26:27], v[36:37]
	v_fma_f64 v[26:27], v[36:37], v[32:33], -v[34:35]
	global_store_b64 v[28:29], v[38:39], off
	s_wait_xcnt 0x0
	v_mov_b64_e32 v[28:29], v[30:31]
	s_cbranch_scc0 .LBB1_60
	s_branch .LBB1_58
.LBB1_61:                               ;   in Loop: Header=BB1_4 Depth=1
	s_or_b32 exec_lo, exec_lo, s47
.LBB1_62:                               ;   in Loop: Header=BB1_4 Depth=1
	s_mov_b32 s47, 0
.LBB1_63:                               ;   in Loop: Header=BB1_4 Depth=1
	s_delay_alu instid0(SALU_CYCLE_1)
	s_and_not1_b32 vcc_lo, exec_lo, s47
	s_cbranch_vccnz .LBB1_70
; %bb.64:                               ;   in Loop: Header=BB1_4 Depth=1
	s_and_saveexec_b32 s47, s1
	s_cbranch_execz .LBB1_69
; %bb.65:                               ;   in Loop: Header=BB1_4 Depth=1
	v_add_nc_u64_e32 v[22:23], s[62:63], v[12:13]
	v_mov_b32_e32 v24, v0
	s_lshl_b64 s[64:65], s[30:31], 3
	s_mov_b32 s70, 0
	s_add_nc_u64 s[64:65], s[56:57], s[64:65]
	s_branch .LBB1_67
.LBB1_66:                               ;   in Loop: Header=BB1_67 Depth=2
	v_add_nc_u32_e32 v24, s12, v24
	v_add_nc_u64_e32 v[22:23], s[50:51], v[22:23]
	s_wait_loadcnt 0x0
	global_store_b64 v[26:27], v[28:29], off offset:-8
	v_cmp_le_i32_e32 vcc_lo, s23, v24
	s_or_b32 s70, vcc_lo, s70
	s_wait_xcnt 0x0
	s_and_not1_b32 exec_lo, exec_lo, s70
	s_cbranch_execz .LBB1_69
.LBB1_67:                               ;   Parent Loop BB1_4 Depth=1
                                        ; =>  This Loop Header: Depth=2
                                        ;       Child Loop BB1_68 Depth 3
	v_ashrrev_i32_e32 v25, 31, v24
	v_mov_b64_e32 v[30:31], v[22:23]
	s_and_not1_b32 vcc_lo, exec_lo, s88
	s_mov_b64 s[66:67], s[60:61]
	s_mov_b64 s[68:69], s[58:59]
	v_mul_u64_e32 v[26:27], s[20:21], v[24:25]
	s_mov_b32 s71, s46
	s_delay_alu instid0(VALU_DEP_1)
	v_lshl_add_u64 v[26:27], v[26:27], 3, s[64:65]
	global_load_b64 v[28:29], v[26:27], off offset:-8
	s_cbranch_vccnz .LBB1_66
.LBB1_68:                               ;   Parent Loop BB1_4 Depth=1
                                        ;     Parent Loop BB1_67 Depth=2
                                        ; =>    This Inner Loop Header: Depth=3
	global_load_b64 v[32:33], v[30:31], off
	s_clause 0x1
	global_load_b64 v[34:35], v1, s[68:69]
	global_load_b64 v[36:37], v1, s[66:67]
	s_add_co_i32 s71, s71, -1
	s_wait_xcnt 0x1
	s_add_nc_u64 s[68:69], s[68:69], -8
	s_cmp_eq_u32 s71, 0
	s_wait_xcnt 0x0
	s_add_nc_u64 s[66:67], s[66:67], -8
	s_wait_loadcnt 0x1
	v_mul_f64_e32 v[38:39], v[34:35], v[32:33]
	s_wait_loadcnt 0x0
	v_mul_f64_e32 v[32:33], v[36:37], v[32:33]
	s_delay_alu instid0(VALU_DEP_2) | instskip(NEXT) | instid1(VALU_DEP_2)
	v_fmac_f64_e32 v[38:39], v[28:29], v[36:37]
	v_fma_f64 v[28:29], v[28:29], v[34:35], -v[32:33]
	global_store_b64 v[30:31], v[38:39], off
	s_wait_xcnt 0x0
	v_add_nc_u64_e32 v[30:31], -8, v[30:31]
	s_cbranch_scc0 .LBB1_68
	s_branch .LBB1_66
.LBB1_69:                               ;   in Loop: Header=BB1_4 Depth=1
	s_or_b32 exec_lo, exec_lo, s47
.LBB1_70:                               ;   in Loop: Header=BB1_4 Depth=1
	s_mov_b32 s47, 0
.LBB1_71:                               ;   in Loop: Header=BB1_4 Depth=1
	s_delay_alu instid0(SALU_CYCLE_1)
	s_and_not1_b32 vcc_lo, exec_lo, s47
	s_cbranch_vccnz .LBB1_78
; %bb.72:                               ;   in Loop: Header=BB1_4 Depth=1
	s_and_saveexec_b32 s47, s1
	s_cbranch_execz .LBB1_77
; %bb.73:                               ;   in Loop: Header=BB1_4 Depth=1
	v_add_nc_u64_e32 v[22:23], s[62:63], v[10:11]
	v_mov_b32_e32 v24, v0
	s_lshl_b64 s[64:65], s[30:31], 3
	s_mov_b32 s70, 0
	s_add_nc_u64 s[64:65], s[56:57], s[64:65]
	s_branch .LBB1_75
.LBB1_74:                               ;   in Loop: Header=BB1_75 Depth=2
	v_add_nc_u32_e32 v24, s12, v24
	v_add_nc_u64_e32 v[22:23], s[50:51], v[22:23]
	s_wait_loadcnt 0x0
	global_store_b64 v[26:27], v[28:29], off offset:-8
	v_cmp_le_i32_e32 vcc_lo, s23, v24
	s_or_b32 s70, vcc_lo, s70
	s_wait_xcnt 0x0
	s_and_not1_b32 exec_lo, exec_lo, s70
	s_cbranch_execz .LBB1_77
.LBB1_75:                               ;   Parent Loop BB1_4 Depth=1
                                        ; =>  This Loop Header: Depth=2
                                        ;       Child Loop BB1_76 Depth 3
	v_ashrrev_i32_e32 v25, 31, v24
	v_mov_b64_e32 v[30:31], v[22:23]
	s_and_not1_b32 vcc_lo, exec_lo, s88
	s_mov_b64 s[66:67], s[54:55]
	s_mov_b64 s[68:69], s[52:53]
	v_mul_u64_e32 v[26:27], s[20:21], v[24:25]
	s_mov_b32 s71, s46
	s_delay_alu instid0(VALU_DEP_1)
	v_lshl_add_u64 v[26:27], v[26:27], 3, s[64:65]
	global_load_b64 v[28:29], v[26:27], off offset:-8
	s_cbranch_vccnz .LBB1_74
.LBB1_76:                               ;   Parent Loop BB1_4 Depth=1
                                        ;     Parent Loop BB1_75 Depth=2
                                        ; =>    This Inner Loop Header: Depth=3
	global_load_b64 v[32:33], v[30:31], off
	s_clause 0x1
	global_load_b64 v[34:35], v1, s[68:69]
	global_load_b64 v[36:37], v1, s[66:67]
	s_add_co_i32 s71, s71, -1
	s_wait_xcnt 0x1
	s_add_nc_u64 s[68:69], s[68:69], 8
	s_cmp_eq_u32 s71, 0
	s_wait_xcnt 0x0
	s_add_nc_u64 s[66:67], s[66:67], 8
	s_wait_loadcnt 0x1
	v_mul_f64_e32 v[38:39], v[34:35], v[32:33]
	s_wait_loadcnt 0x0
	v_mul_f64_e32 v[32:33], v[36:37], v[32:33]
	s_delay_alu instid0(VALU_DEP_2) | instskip(NEXT) | instid1(VALU_DEP_2)
	v_fmac_f64_e32 v[38:39], v[28:29], v[36:37]
	v_fma_f64 v[28:29], v[28:29], v[34:35], -v[32:33]
	global_store_b64 v[30:31], v[38:39], off
	s_wait_xcnt 0x0
	v_add_nc_u64_e32 v[30:31], 8, v[30:31]
	s_cbranch_scc0 .LBB1_76
	s_branch .LBB1_74
.LBB1_77:                               ;   in Loop: Header=BB1_4 Depth=1
	s_or_b32 exec_lo, exec_lo, s47
.LBB1_78:                               ;   in Loop: Header=BB1_4 Depth=1
	s_mov_b32 s47, 0
.LBB1_79:                               ;   in Loop: Header=BB1_4 Depth=1
	s_delay_alu instid0(SALU_CYCLE_1)
	s_and_not1_b32 vcc_lo, exec_lo, s47
	s_cbranch_vccnz .LBB1_86
; %bb.80:                               ;   in Loop: Header=BB1_4 Depth=1
	s_and_saveexec_b32 s47, s1
	s_cbranch_execz .LBB1_85
; %bb.81:                               ;   in Loop: Header=BB1_4 Depth=1
	v_add_nc_u64_e32 v[22:23], s[62:63], v[14:15]
	v_mov_b32_e32 v24, v0
	s_mov_b32 s68, 0
	s_branch .LBB1_83
.LBB1_82:                               ;   in Loop: Header=BB1_83 Depth=2
	v_add_nc_u32_e32 v24, s12, v24
	v_add_nc_u64_e32 v[22:23], s[50:51], v[22:23]
	s_wait_loadcnt 0x0
	global_store_b64 v[26:27], v[28:29], off
	v_cmp_le_i32_e32 vcc_lo, s23, v24
	s_or_b32 s68, vcc_lo, s68
	s_wait_xcnt 0x0
	s_and_not1_b32 exec_lo, exec_lo, s68
	s_cbranch_execz .LBB1_85
.LBB1_83:                               ;   Parent Loop BB1_4 Depth=1
                                        ; =>  This Loop Header: Depth=2
                                        ;       Child Loop BB1_84 Depth 3
	s_delay_alu instid0(VALU_DEP_1) | instskip(NEXT) | instid1(VALU_DEP_3)
	v_ashrrev_i32_e32 v25, 31, v24
	v_mov_b64_e32 v[30:31], v[22:23]
	s_and_not1_b32 vcc_lo, exec_lo, s88
	s_mov_b64 s[64:65], s[60:61]
	s_mov_b64 s[66:67], s[58:59]
	v_mul_u64_e32 v[26:27], s[20:21], v[24:25]
	s_mov_b32 s69, s13
	s_delay_alu instid0(VALU_DEP_1)
	v_lshl_add_u64 v[26:27], v[26:27], 3, s[56:57]
	global_load_b64 v[28:29], v[26:27], off
	s_cbranch_vccnz .LBB1_82
.LBB1_84:                               ;   Parent Loop BB1_4 Depth=1
                                        ;     Parent Loop BB1_83 Depth=2
                                        ; =>    This Inner Loop Header: Depth=3
	s_clause 0x1
	global_load_b64 v[32:33], v1, s[64:65]
	global_load_b64 v[34:35], v1, s[66:67]
	global_load_b64 v[36:37], v[30:31], off
	s_wait_loadcnt 0x3
	v_mov_b64_e32 v[38:39], v[28:29]
	s_add_co_i32 s69, s69, -1
	s_wait_xcnt 0x1
	s_add_nc_u64 s[66:67], s[66:67], -8
	s_cmp_lt_u32 s69, 3
	s_add_nc_u64 s[64:65], s[64:65], -8
	s_wait_loadcnt 0x2
	v_mul_f64_e32 v[40:41], v[38:39], v[32:33]
	s_wait_loadcnt 0x0
	v_mul_f64_e32 v[28:29], v[32:33], v[36:37]
	s_delay_alu instid0(VALU_DEP_2) | instskip(NEXT) | instid1(VALU_DEP_2)
	v_fma_f64 v[32:33], v[34:35], v[36:37], -v[40:41]
	v_fmac_f64_e32 v[28:29], v[38:39], v[34:35]
	global_store_b64 v[30:31], v[32:33], off
	s_wait_xcnt 0x0
	v_add_nc_u64_e32 v[30:31], -8, v[30:31]
	s_cbranch_scc0 .LBB1_84
	s_branch .LBB1_82
.LBB1_85:                               ;   in Loop: Header=BB1_4 Depth=1
	s_or_b32 exec_lo, exec_lo, s47
.LBB1_86:                               ;   in Loop: Header=BB1_4 Depth=1
	s_mov_b32 s47, 0
.LBB1_87:                               ;   in Loop: Header=BB1_4 Depth=1
	s_delay_alu instid0(SALU_CYCLE_1)
	s_and_not1_b32 vcc_lo, exec_lo, s47
	s_cbranch_vccnz .LBB1_94
; %bb.88:                               ;   in Loop: Header=BB1_4 Depth=1
	s_and_saveexec_b32 s47, s1
	s_cbranch_execz .LBB1_93
; %bb.89:                               ;   in Loop: Header=BB1_4 Depth=1
	v_mov_b64_e32 v[22:23], v[20:21]
	v_mov_b32_e32 v24, v0
	s_mov_b32 s68, 0
	s_branch .LBB1_91
.LBB1_90:                               ;   in Loop: Header=BB1_91 Depth=2
	v_add_nc_u32_e32 v24, s12, v24
	v_add_nc_u64_e32 v[22:23], s[50:51], v[22:23]
	s_wait_loadcnt 0x0
	global_store_b64 v[26:27], v[28:29], off
	v_cmp_le_i32_e32 vcc_lo, s23, v24
	s_or_b32 s68, vcc_lo, s68
	s_wait_xcnt 0x0
	s_and_not1_b32 exec_lo, exec_lo, s68
	s_cbranch_execz .LBB1_93
.LBB1_91:                               ;   Parent Loop BB1_4 Depth=1
                                        ; =>  This Loop Header: Depth=2
                                        ;       Child Loop BB1_92 Depth 3
	s_delay_alu instid0(VALU_DEP_1) | instskip(NEXT) | instid1(VALU_DEP_3)
	v_ashrrev_i32_e32 v25, 31, v24
	v_mov_b64_e32 v[30:31], v[22:23]
	s_and_not1_b32 vcc_lo, exec_lo, s88
	s_mov_b32 s69, s46
	s_mov_b64 s[64:65], s[52:53]
	v_mul_u64_e32 v[26:27], s[20:21], v[24:25]
	s_mov_b64 s[66:67], s[54:55]
	s_delay_alu instid0(VALU_DEP_1)
	v_lshl_add_u64 v[26:27], v[26:27], 3, s[56:57]
	global_load_b64 v[28:29], v[26:27], off
	s_cbranch_vccnz .LBB1_90
.LBB1_92:                               ;   Parent Loop BB1_4 Depth=1
                                        ;     Parent Loop BB1_91 Depth=2
                                        ; =>    This Inner Loop Header: Depth=3
	s_clause 0x1
	global_load_b64 v[32:33], v1, s[66:67]
	global_load_b64 v[34:35], v1, s[64:65]
	global_load_b64 v[36:37], v[30:31], off
	s_wait_loadcnt 0x3
	v_mov_b64_e32 v[38:39], v[28:29]
	s_add_co_i32 s69, s69, -1
	s_wait_xcnt 0x2
	s_add_nc_u64 s[66:67], s[66:67], 8
	s_cmp_eq_u32 s69, 0
	s_wait_xcnt 0x1
	s_add_nc_u64 s[64:65], s[64:65], 8
	s_wait_loadcnt 0x2
	v_mul_f64_e32 v[40:41], v[38:39], v[32:33]
	s_wait_loadcnt 0x0
	v_mul_f64_e32 v[28:29], v[32:33], v[36:37]
	s_delay_alu instid0(VALU_DEP_2) | instskip(NEXT) | instid1(VALU_DEP_2)
	v_fma_f64 v[32:33], v[34:35], v[36:37], -v[40:41]
	v_fmac_f64_e32 v[28:29], v[38:39], v[34:35]
	global_store_b64 v[30:31], v[32:33], off
	s_wait_xcnt 0x0
	v_add_nc_u64_e32 v[30:31], 8, v[30:31]
	s_cbranch_scc0 .LBB1_92
	s_branch .LBB1_90
.LBB1_93:                               ;   in Loop: Header=BB1_4 Depth=1
	s_or_b32 exec_lo, exec_lo, s47
.LBB1_94:                               ;   in Loop: Header=BB1_4 Depth=1
	s_mov_b32 s47, 0
.LBB1_95:                               ;   in Loop: Header=BB1_4 Depth=1
	s_delay_alu instid0(SALU_CYCLE_1)
	s_and_not1_b32 vcc_lo, exec_lo, s47
	s_cbranch_vccnz .LBB1_102
; %bb.96:                               ;   in Loop: Header=BB1_4 Depth=1
	s_and_saveexec_b32 s47, s1
	s_cbranch_execz .LBB1_101
; %bb.97:                               ;   in Loop: Header=BB1_4 Depth=1
	v_add_nc_u64_e32 v[22:23], s[62:63], v[18:19]
	v_mov_b32_e32 v24, v0
	s_lshl_b64 s[62:63], s[30:31], 3
	s_mov_b32 s68, 0
	s_add_nc_u64 s[62:63], s[56:57], s[62:63]
	s_branch .LBB1_99
.LBB1_98:                               ;   in Loop: Header=BB1_99 Depth=2
	v_add_nc_u32_e32 v24, s12, v24
	v_add_nc_u64_e32 v[22:23], s[50:51], v[22:23]
	v_lshl_add_u64 v[26:27], v[26:27], 3, s[56:57]
	s_delay_alu instid0(VALU_DEP_3)
	v_cmp_le_i32_e32 vcc_lo, s23, v24
	s_wait_loadcnt 0x0
	global_store_b64 v[26:27], v[28:29], off
	s_or_b32 s68, vcc_lo, s68
	s_wait_xcnt 0x0
	s_and_not1_b32 exec_lo, exec_lo, s68
	s_cbranch_execz .LBB1_101
.LBB1_99:                               ;   Parent Loop BB1_4 Depth=1
                                        ; =>  This Loop Header: Depth=2
                                        ;       Child Loop BB1_100 Depth 3
	v_ashrrev_i32_e32 v25, 31, v24
	v_mov_b64_e32 v[30:31], v[22:23]
	s_and_not1_b32 vcc_lo, exec_lo, s88
	s_mov_b64 s[64:65], s[60:61]
	s_mov_b64 s[66:67], s[58:59]
	v_mul_u64_e32 v[26:27], s[20:21], v[24:25]
	s_mov_b32 s69, s46
	s_delay_alu instid0(VALU_DEP_1)
	v_lshl_add_u64 v[28:29], v[26:27], 3, s[62:63]
	global_load_b64 v[28:29], v[28:29], off offset:-8
	s_cbranch_vccnz .LBB1_98
.LBB1_100:                              ;   Parent Loop BB1_4 Depth=1
                                        ;     Parent Loop BB1_99 Depth=2
                                        ; =>    This Inner Loop Header: Depth=3
	global_load_b64 v[32:33], v[30:31], off offset:-8
	s_clause 0x1
	global_load_b64 v[34:35], v1, s[64:65]
	global_load_b64 v[36:37], v1, s[66:67]
	s_wait_loadcnt 0x3
	v_mov_b64_e32 v[40:41], v[28:29]
	s_add_co_i32 s69, s69, -1
	s_wait_xcnt 0x0
	s_add_nc_u64 s[66:67], s[66:67], -8
	s_cmp_eq_u32 s69, 0
	s_add_nc_u64 s[64:65], s[64:65], -8
	s_wait_loadcnt 0x1
	v_mul_f64_e32 v[38:39], v[34:35], v[32:33]
	s_wait_loadcnt 0x0
	v_mul_f64_e32 v[28:29], v[36:37], v[32:33]
	s_delay_alu instid0(VALU_DEP_2) | instskip(NEXT) | instid1(VALU_DEP_2)
	v_fma_f64 v[32:33], v[40:41], v[36:37], -v[38:39]
	v_fmac_f64_e32 v[28:29], v[40:41], v[34:35]
	v_add_nc_u64_e32 v[34:35], -8, v[30:31]
	global_store_b64 v[30:31], v[32:33], off
	s_wait_xcnt 0x0
	v_mov_b64_e32 v[30:31], v[34:35]
	s_cbranch_scc0 .LBB1_100
	s_branch .LBB1_98
.LBB1_101:                              ;   in Loop: Header=BB1_4 Depth=1
	s_or_b32 exec_lo, exec_lo, s47
.LBB1_102:                              ;   in Loop: Header=BB1_4 Depth=1
	s_cbranch_execnz .LBB1_3
.LBB1_103:                              ;   in Loop: Header=BB1_4 Depth=1
	s_and_saveexec_b32 s47, s1
	s_cbranch_execz .LBB1_2
; %bb.104:                              ;   in Loop: Header=BB1_4 Depth=1
	v_mov_b32_e32 v22, v0
	s_lshl_b64 s[58:59], s[30:31], 3
	s_mov_b32 s64, 0
	s_add_nc_u64 s[58:59], s[56:57], s[58:59]
	s_branch .LBB1_106
.LBB1_105:                              ;   in Loop: Header=BB1_106 Depth=2
	v_add_nc_u32_e32 v22, s12, v22
	v_add_nc_u64_e32 v[20:21], s[50:51], v[20:21]
	v_lshl_add_u64 v[24:25], v[24:25], 3, s[58:59]
	s_delay_alu instid0(VALU_DEP_3)
	v_cmp_le_i32_e32 vcc_lo, s23, v22
	s_wait_loadcnt 0x0
	global_store_b64 v[24:25], v[26:27], off offset:-8
	s_or_b32 s64, vcc_lo, s64
	s_wait_xcnt 0x0
	s_and_not1_b32 exec_lo, exec_lo, s64
	s_cbranch_execz .LBB1_2
.LBB1_106:                              ;   Parent Loop BB1_4 Depth=1
                                        ; =>  This Loop Header: Depth=2
                                        ;       Child Loop BB1_107 Depth 3
	v_ashrrev_i32_e32 v23, 31, v22
	v_mov_b64_e32 v[28:29], v[20:21]
	s_and_not1_b32 vcc_lo, exec_lo, s88
	s_mov_b64 s[60:61], s[54:55]
	s_mov_b64 s[62:63], s[52:53]
	v_mul_u64_e32 v[24:25], s[20:21], v[22:23]
	s_mov_b32 s65, s46
	s_delay_alu instid0(VALU_DEP_1)
	v_lshl_add_u64 v[26:27], v[24:25], 3, s[56:57]
	global_load_b64 v[26:27], v[26:27], off
	s_cbranch_vccnz .LBB1_105
.LBB1_107:                              ;   Parent Loop BB1_4 Depth=1
                                        ;     Parent Loop BB1_106 Depth=2
                                        ; =>    This Inner Loop Header: Depth=3
	global_load_b64 v[30:31], v[28:29], off
	s_clause 0x1
	global_load_b64 v[32:33], v1, s[60:61]
	global_load_b64 v[34:35], v1, s[62:63]
	s_add_co_i32 s65, s65, -1
	s_wait_xcnt 0x0
	s_add_nc_u64 s[62:63], s[62:63], 8
	s_cmp_eq_u32 s65, 0
	s_add_nc_u64 s[60:61], s[60:61], 8
	s_wait_loadcnt 0x1
	v_mul_f64_e32 v[36:37], v[32:33], v[30:31]
	v_mul_f64_e32 v[32:33], v[26:27], v[32:33]
	s_wait_loadcnt 0x0
	s_delay_alu instid0(VALU_DEP_2) | instskip(NEXT) | instid1(VALU_DEP_2)
	v_fmac_f64_e32 v[36:37], v[26:27], v[34:35]
	v_fma_f64 v[26:27], v[34:35], v[30:31], -v[32:33]
	global_store_b64 v[28:29], v[36:37], off offset:-8
	s_wait_xcnt 0x0
	v_add_nc_u64_e32 v[28:29], 8, v[28:29]
	s_cbranch_scc0 .LBB1_107
	s_branch .LBB1_105
.LBB1_108:
	s_endpgm
	.section	.rodata,"a",@progbits
	.p2align	6, 0x0
	.amdhsa_kernel _ZN9rocsolver6v33100L11lasr_kernelIddPdiEEv13rocblas_side_14rocblas_pivot_15rocblas_direct_T2_S6_PT0_lS8_lT1_lS6_lS6_
		.amdhsa_group_segment_fixed_size 0
		.amdhsa_private_segment_fixed_size 0
		.amdhsa_kernarg_size 352
		.amdhsa_user_sgpr_count 2
		.amdhsa_user_sgpr_dispatch_ptr 0
		.amdhsa_user_sgpr_queue_ptr 0
		.amdhsa_user_sgpr_kernarg_segment_ptr 1
		.amdhsa_user_sgpr_dispatch_id 0
		.amdhsa_user_sgpr_kernarg_preload_length 0
		.amdhsa_user_sgpr_kernarg_preload_offset 0
		.amdhsa_user_sgpr_private_segment_size 0
		.amdhsa_wavefront_size32 1
		.amdhsa_uses_dynamic_stack 0
		.amdhsa_enable_private_segment 0
		.amdhsa_system_sgpr_workgroup_id_x 1
		.amdhsa_system_sgpr_workgroup_id_y 0
		.amdhsa_system_sgpr_workgroup_id_z 1
		.amdhsa_system_sgpr_workgroup_info 0
		.amdhsa_system_vgpr_workitem_id 0
		.amdhsa_next_free_vgpr 46
		.amdhsa_next_free_sgpr 91
		.amdhsa_named_barrier_count 0
		.amdhsa_reserve_vcc 1
		.amdhsa_float_round_mode_32 0
		.amdhsa_float_round_mode_16_64 0
		.amdhsa_float_denorm_mode_32 3
		.amdhsa_float_denorm_mode_16_64 3
		.amdhsa_fp16_overflow 0
		.amdhsa_memory_ordered 1
		.amdhsa_forward_progress 1
		.amdhsa_inst_pref_size 33
		.amdhsa_round_robin_scheduling 0
		.amdhsa_exception_fp_ieee_invalid_op 0
		.amdhsa_exception_fp_denorm_src 0
		.amdhsa_exception_fp_ieee_div_zero 0
		.amdhsa_exception_fp_ieee_overflow 0
		.amdhsa_exception_fp_ieee_underflow 0
		.amdhsa_exception_fp_ieee_inexact 0
		.amdhsa_exception_int_div_zero 0
	.end_amdhsa_kernel
	.section	.text._ZN9rocsolver6v33100L11lasr_kernelIddPdiEEv13rocblas_side_14rocblas_pivot_15rocblas_direct_T2_S6_PT0_lS8_lT1_lS6_lS6_,"axG",@progbits,_ZN9rocsolver6v33100L11lasr_kernelIddPdiEEv13rocblas_side_14rocblas_pivot_15rocblas_direct_T2_S6_PT0_lS8_lT1_lS6_lS6_,comdat
.Lfunc_end1:
	.size	_ZN9rocsolver6v33100L11lasr_kernelIddPdiEEv13rocblas_side_14rocblas_pivot_15rocblas_direct_T2_S6_PT0_lS8_lT1_lS6_lS6_, .Lfunc_end1-_ZN9rocsolver6v33100L11lasr_kernelIddPdiEEv13rocblas_side_14rocblas_pivot_15rocblas_direct_T2_S6_PT0_lS8_lT1_lS6_lS6_
                                        ; -- End function
	.set _ZN9rocsolver6v33100L11lasr_kernelIddPdiEEv13rocblas_side_14rocblas_pivot_15rocblas_direct_T2_S6_PT0_lS8_lT1_lS6_lS6_.num_vgpr, 46
	.set _ZN9rocsolver6v33100L11lasr_kernelIddPdiEEv13rocblas_side_14rocblas_pivot_15rocblas_direct_T2_S6_PT0_lS8_lT1_lS6_lS6_.num_agpr, 0
	.set _ZN9rocsolver6v33100L11lasr_kernelIddPdiEEv13rocblas_side_14rocblas_pivot_15rocblas_direct_T2_S6_PT0_lS8_lT1_lS6_lS6_.numbered_sgpr, 91
	.set _ZN9rocsolver6v33100L11lasr_kernelIddPdiEEv13rocblas_side_14rocblas_pivot_15rocblas_direct_T2_S6_PT0_lS8_lT1_lS6_lS6_.num_named_barrier, 0
	.set _ZN9rocsolver6v33100L11lasr_kernelIddPdiEEv13rocblas_side_14rocblas_pivot_15rocblas_direct_T2_S6_PT0_lS8_lT1_lS6_lS6_.private_seg_size, 0
	.set _ZN9rocsolver6v33100L11lasr_kernelIddPdiEEv13rocblas_side_14rocblas_pivot_15rocblas_direct_T2_S6_PT0_lS8_lT1_lS6_lS6_.uses_vcc, 1
	.set _ZN9rocsolver6v33100L11lasr_kernelIddPdiEEv13rocblas_side_14rocblas_pivot_15rocblas_direct_T2_S6_PT0_lS8_lT1_lS6_lS6_.uses_flat_scratch, 0
	.set _ZN9rocsolver6v33100L11lasr_kernelIddPdiEEv13rocblas_side_14rocblas_pivot_15rocblas_direct_T2_S6_PT0_lS8_lT1_lS6_lS6_.has_dyn_sized_stack, 0
	.set _ZN9rocsolver6v33100L11lasr_kernelIddPdiEEv13rocblas_side_14rocblas_pivot_15rocblas_direct_T2_S6_PT0_lS8_lT1_lS6_lS6_.has_recursion, 0
	.set _ZN9rocsolver6v33100L11lasr_kernelIddPdiEEv13rocblas_side_14rocblas_pivot_15rocblas_direct_T2_S6_PT0_lS8_lT1_lS6_lS6_.has_indirect_call, 0
	.section	.AMDGPU.csdata,"",@progbits
; Kernel info:
; codeLenInByte = 4192
; TotalNumSgprs: 93
; NumVgprs: 46
; ScratchSize: 0
; MemoryBound: 0
; FloatMode: 240
; IeeeMode: 1
; LDSByteSize: 0 bytes/workgroup (compile time only)
; SGPRBlocks: 0
; VGPRBlocks: 2
; NumSGPRsForWavesPerEU: 93
; NumVGPRsForWavesPerEU: 46
; NamedBarCnt: 0
; Occupancy: 16
; WaveLimiterHint : 0
; COMPUTE_PGM_RSRC2:SCRATCH_EN: 0
; COMPUTE_PGM_RSRC2:USER_SGPR: 2
; COMPUTE_PGM_RSRC2:TRAP_HANDLER: 0
; COMPUTE_PGM_RSRC2:TGID_X_EN: 1
; COMPUTE_PGM_RSRC2:TGID_Y_EN: 0
; COMPUTE_PGM_RSRC2:TGID_Z_EN: 1
; COMPUTE_PGM_RSRC2:TIDIG_COMP_CNT: 0
	.section	.text._ZN9rocsolver6v33100L11lasr_kernelI19rocblas_complex_numIfEfPS3_iEEv13rocblas_side_14rocblas_pivot_15rocblas_direct_T2_S8_PT0_lSA_lT1_lS8_lS8_,"axG",@progbits,_ZN9rocsolver6v33100L11lasr_kernelI19rocblas_complex_numIfEfPS3_iEEv13rocblas_side_14rocblas_pivot_15rocblas_direct_T2_S8_PT0_lSA_lT1_lS8_lS8_,comdat
	.globl	_ZN9rocsolver6v33100L11lasr_kernelI19rocblas_complex_numIfEfPS3_iEEv13rocblas_side_14rocblas_pivot_15rocblas_direct_T2_S8_PT0_lSA_lT1_lS8_lS8_ ; -- Begin function _ZN9rocsolver6v33100L11lasr_kernelI19rocblas_complex_numIfEfPS3_iEEv13rocblas_side_14rocblas_pivot_15rocblas_direct_T2_S8_PT0_lSA_lT1_lS8_lS8_
	.p2align	8
	.type	_ZN9rocsolver6v33100L11lasr_kernelI19rocblas_complex_numIfEfPS3_iEEv13rocblas_side_14rocblas_pivot_15rocblas_direct_T2_S8_PT0_lSA_lT1_lS8_lS8_,@function
_ZN9rocsolver6v33100L11lasr_kernelI19rocblas_complex_numIfEfPS3_iEEv13rocblas_side_14rocblas_pivot_15rocblas_direct_T2_S8_PT0_lSA_lT1_lS8_lS8_: ; @_ZN9rocsolver6v33100L11lasr_kernelI19rocblas_complex_numIfEfPS3_iEEv13rocblas_side_14rocblas_pivot_15rocblas_direct_T2_S8_PT0_lSA_lT1_lS8_lS8_
; %bb.0:
	s_load_b32 s33, s[0:1], 0x58
	s_bfe_u32 s2, ttmp6, 0x40014
	s_lshr_b32 s3, ttmp7, 16
	s_add_co_i32 s2, s2, 1
	s_bfe_u32 s5, ttmp6, 0x40008
	s_mul_i32 s2, s3, s2
	s_getreg_b32 s4, hwreg(HW_REG_IB_STS2, 6, 4)
	s_add_co_i32 s5, s5, s2
	s_cmp_eq_u32 s4, 0
	s_cselect_b32 s2, s3, s5
	s_mov_b32 s3, 0
	s_wait_kmcnt 0x0
	s_cmp_ge_u32 s2, s33
	s_cbranch_scc1 .LBB2_108
; %bb.1:
	s_clause 0x3
	s_load_b32 s20, s[0:1], 0x48
	s_load_b64 s[22:23], s[0:1], 0x68
	s_load_b128 s[16:19], s[0:1], 0x38
	s_load_b128 s[12:15], s[0:1], 0x0
	s_bfe_u32 s5, ttmp6, 0x4000c
	s_and_b32 s6, ttmp6, 15
	s_add_co_i32 s5, s5, 1
	s_load_b32 s24, s[0:1], 0x60
	s_mul_i32 s5, ttmp9, s5
	s_mov_b32 s37, s3
	s_add_co_i32 s6, s6, s5
	s_mov_b32 s49, s3
	s_wait_kmcnt 0x0
	s_ashr_i32 s21, s20, 31
	s_and_b32 s25, s23, 0xffff
	s_cmp_eq_u32 s4, 0
	s_load_b32 s23, s[0:1], 0x10
	s_cselect_b32 s26, ttmp9, s6
	s_lshl_b64 s[46:47], s[18:19], 3
	v_mad_u32 v0, s26, s25, v0
	s_cmp_eq_u32 s12, 0x8d
	s_load_b64 s[18:19], s[0:1], 0x50
	s_cselect_b32 s27, -1, 0
	s_cmp_eq_u32 s12, 0x8e
	s_load_b256 s[4:11], s[0:1], 0x18
	s_cselect_b32 s28, -1, 0
	s_cmp_eq_u32 s13, 0x119
	s_mul_i32 s12, s24, s25
	s_cselect_b32 s29, -1, 0
	s_cmp_eq_u32 s13, 0x11b
	v_ashrrev_i32_e32 v1, 31, v0
	s_wait_xcnt 0x0
	s_cselect_b32 s0, -1, 0
	s_cmp_eq_u32 s13, 0x11a
	s_add_nc_u64 s[24:25], s[16:17], s[46:47]
	s_cselect_b32 s1, -1, 0
	v_mul_u64_e32 v[10:11], s[20:21], v[0:1]
	s_cmp_eq_u32 s14, 0xab
	v_lshlrev_b64_e32 v[8:9], 3, v[0:1]
	s_cselect_b32 s13, -1, 0
	s_cmp_eq_u32 s14, 0xac
	v_mov_b32_e32 v1, 0
	s_cselect_b32 s26, -1, 0
	s_and_b32 s14, s27, s29
	s_and_b32 s30, s27, s1
	s_and_b32 s31, s14, s13
	s_and_b32 s27, s27, s0
	s_and_b32 s34, s14, s26
	s_xor_b32 s14, s31, -1
	s_and_b32 s31, s27, s13
	s_and_b32 s29, s28, s29
	;; [unrolled: 1-line block ×4, first 2 shown]
	s_xor_b32 s80, s27, -1
	s_and_b32 s27, s29, s26
	s_and_b32 s30, s30, s26
	s_xor_b32 s82, s27, -1
	s_and_b32 s27, s28, s0
	v_cmp_gt_i32_e64 s0, s15, v0
	s_and_b32 s1, s28, s1
	s_xor_b32 s78, s30, -1
	s_and_b32 s30, s29, s13
	s_and_b32 s29, s1, s13
	;; [unrolled: 1-line block ×4, first 2 shown]
	s_xor_b32 s84, s1, -1
	s_and_b32 s1, s26, s0
	s_wait_kmcnt 0x0
	s_add_co_i32 s26, s23, -1
	s_xor_b32 s76, s34, -1
	s_xor_b32 s77, s35, -1
	;; [unrolled: 1-line block ×6, first 2 shown]
	s_and_b32 s86, s27, s1
	s_ashr_i32 s27, s26, 31
	s_add_co_i32 s36, s23, -2
	s_cmp_gt_i32 s23, 1
	s_mul_u64 s[28:29], s[20:21], s[26:27]
	s_mov_b32 s27, s3
	s_cselect_b32 s87, -1, 0
	s_ashr_i32 s31, s15, 31
	s_add_co_i32 s48, s15, -2
	s_cmp_gt_i32 s15, 1
	s_mul_u64 s[50:51], s[20:21], s[26:27]
	s_cselect_b32 s88, -1, 0
	s_lshl_b64 s[38:39], s[36:37], 2
	s_mul_u64 s[36:37], s[20:21], s[36:37]
	s_lshl_b64 s[50:51], s[50:51], 3
	s_lshl_b64 s[36:37], s[36:37], 3
	;; [unrolled: 1-line block ×3, first 2 shown]
	s_add_nc_u64 s[50:51], s[50:51], s[46:47]
	s_add_nc_u64 s[40:41], s[36:37], s[46:47]
	;; [unrolled: 1-line block ×4, first 2 shown]
	v_lshl_add_u64 v[14:15], v[10:11], 3, s[46:47]
	s_add_nc_u64 s[34:35], s[4:5], s[38:39]
	s_add_nc_u64 s[36:37], s[8:9], s[38:39]
	;; [unrolled: 1-line block ×4, first 2 shown]
	v_add_nc_u64_e32 v[6:7], s[50:51], v[8:9]
	s_lshl_b64 s[50:51], s[48:49], 3
	v_add_nc_u64_e32 v[2:3], s[38:39], v[8:9]
	v_add_nc_u64_e32 v[4:5], s[24:25], v[8:9]
	;; [unrolled: 1-line block ×3, first 2 shown]
	s_lshl_b64 s[52:53], s[48:49], 2
	s_add_nc_u64 s[48:49], s[16:17], s[50:51]
	v_add_nc_u64_e32 v[10:11], s[16:17], v[14:15]
	v_add_nc_u64_e32 v[12:13], s[48:49], v[14:15]
	s_add_co_i32 s46, s15, -1
	s_mov_b32 s47, s3
	s_ashr_i32 s13, s12, 31
	s_lshl_b64 s[50:51], s[46:47], 3
	v_cmp_gt_i32_e64 s1, s23, v0
	s_add_nc_u64 s[16:17], s[16:17], s[50:51]
	v_add_nc_u64_e32 v[16:17], 8, v[10:11]
	v_add_nc_u64_e32 v[14:15], s[16:17], v[14:15]
	;; [unrolled: 1-line block ×3, first 2 shown]
	s_mul_u64 s[50:51], s[20:21], s[12:13]
	s_mov_b32 s30, s15
	s_lshl_b64 s[6:7], s[6:7], 2
	s_lshl_b64 s[10:11], s[10:11], 2
	;; [unrolled: 1-line block ×4, first 2 shown]
	s_sub_nc_u64 s[44:45], 0, s[42:43]
	s_add_co_i32 s27, s23, 1
	s_add_nc_u64 s[48:49], s[4:5], s[52:53]
	s_add_nc_u64 s[16:17], s[8:9], s[52:53]
	s_lshl_b64 s[50:51], s[50:51], 3
	s_add_co_i32 s13, s15, 1
	s_branch .LBB2_4
.LBB2_2:                                ;   in Loop: Header=BB2_4 Depth=1
	s_or_b32 exec_lo, exec_lo, s47
.LBB2_3:                                ;   in Loop: Header=BB2_4 Depth=1
	s_add_co_i32 s2, s2, s22
	s_delay_alu instid0(SALU_CYCLE_1)
	s_cmp_ge_u32 s2, s33
	s_cbranch_scc1 .LBB2_108
.LBB2_4:                                ; =>This Loop Header: Depth=1
                                        ;     Child Loop BB2_19 Depth 2
                                        ;       Child Loop BB2_20 Depth 3
                                        ;     Child Loop BB2_26 Depth 2
                                        ;       Child Loop BB2_27 Depth 3
	;; [unrolled: 2-line block ×12, first 2 shown]
	s_mul_u64 s[62:63], s[38:39], s[2:3]
	s_mul_u64 s[54:55], s[18:19], s[2:3]
	v_add_nc_u64_e32 v[20:21], s[62:63], v[16:17]
	s_mul_u64 s[64:65], s[6:7], s[2:3]
	s_mul_u64 s[66:67], s[10:11], s[2:3]
	s_lshl_b64 s[56:57], s[54:55], 3
	s_add_nc_u64 s[52:53], s[4:5], s[64:65]
	s_add_nc_u64 s[54:55], s[8:9], s[66:67]
	;; [unrolled: 1-line block ×3, first 2 shown]
	s_and_b32 vcc_lo, exec_lo, s14
	s_mov_b32 s47, -1
	s_cbranch_vccnz .LBB2_6
; %bb.5:                                ;   in Loop: Header=BB2_4 Depth=1
	s_and_not1_b32 vcc_lo, exec_lo, s47
	s_cbranch_vccnz .LBB2_3
	s_branch .LBB2_103
.LBB2_6:                                ;   in Loop: Header=BB2_4 Depth=1
	s_add_nc_u64 s[58:59], s[48:49], s[64:65]
	s_add_nc_u64 s[60:61], s[16:17], s[66:67]
	s_and_b32 vcc_lo, exec_lo, s76
	s_cbranch_vccz .LBB2_95
; %bb.7:                                ;   in Loop: Header=BB2_4 Depth=1
	s_and_b32 vcc_lo, exec_lo, s77
	s_cbranch_vccz .LBB2_87
; %bb.8:                                ;   in Loop: Header=BB2_4 Depth=1
	;; [unrolled: 3-line block ×3, first 2 shown]
	s_and_b32 vcc_lo, exec_lo, s79
	s_cbranch_vccz .LBB2_71
; %bb.10:                               ;   in Loop: Header=BB2_4 Depth=1
	s_and_b32 vcc_lo, exec_lo, s80
	s_cbranch_vccz .LBB2_63
; %bb.11:                               ;   in Loop: Header=BB2_4 Depth=1
	v_add_nc_u64_e32 v[22:23], s[62:63], v[4:5]
	s_and_b32 vcc_lo, exec_lo, s81
	s_cbranch_vccz .LBB2_55
; %bb.12:                               ;   in Loop: Header=BB2_4 Depth=1
	v_add_nc_u64_e32 v[24:25], s[62:63], v[6:7]
	v_add_nc_u64_e32 v[26:27], s[62:63], v[2:3]
	s_add_nc_u64 s[64:65], s[34:35], s[64:65]
	s_add_nc_u64 s[66:67], s[36:37], s[66:67]
	s_and_b32 vcc_lo, exec_lo, s82
	s_cbranch_vccz .LBB2_46
; %bb.13:                               ;   in Loop: Header=BB2_4 Depth=1
	s_and_b32 vcc_lo, exec_lo, s83
	s_cbranch_vccz .LBB2_38
; %bb.14:                               ;   in Loop: Header=BB2_4 Depth=1
	;; [unrolled: 3-line block ×4, first 2 shown]
	s_and_saveexec_b32 s47, s86
	s_cbranch_execz .LBB2_21
; %bb.17:                               ;   in Loop: Header=BB2_4 Depth=1
	v_mov_b64_e32 v[28:29], v[26:27]
	v_mov_b32_e32 v30, v0
	s_lshl_b64 s[68:69], s[28:29], 3
	s_mov_b32 s74, 0
	s_add_nc_u64 s[68:69], s[56:57], s[68:69]
	s_branch .LBB2_19
.LBB2_18:                               ;   in Loop: Header=BB2_19 Depth=2
	v_ashrrev_i32_e32 v31, 31, v30
	v_add_nc_u64_e32 v[28:29], s[40:41], v[28:29]
	s_delay_alu instid0(VALU_DEP_2)
	v_lshl_add_u64 v[34:35], v[30:31], 3, s[68:69]
	s_wait_xcnt 0x0
	v_add_nc_u32_e32 v30, s12, v30
	s_wait_loadcnt 0x0
	global_store_b64 v[34:35], v[32:33], off
	v_cmp_le_i32_e32 vcc_lo, s15, v30
	s_or_b32 s74, vcc_lo, s74
	s_wait_xcnt 0x0
	s_and_not1_b32 exec_lo, exec_lo, s74
	s_cbranch_execz .LBB2_21
.LBB2_19:                               ;   Parent Loop BB2_4 Depth=1
                                        ; =>  This Loop Header: Depth=2
                                        ;       Child Loop BB2_20 Depth 3
	global_load_b64 v[32:33], v30, s[68:69] scale_offset
	v_mov_b64_e32 v[34:35], v[28:29]
	s_and_not1_b32 vcc_lo, exec_lo, s87
	s_mov_b64 s[70:71], s[66:67]
	s_mov_b64 s[72:73], s[64:65]
	s_mov_b32 s75, s26
	s_cbranch_vccnz .LBB2_18
.LBB2_20:                               ;   Parent Loop BB2_4 Depth=1
                                        ;     Parent Loop BB2_19 Depth=2
                                        ; =>    This Inner Loop Header: Depth=3
	global_load_b64 v[36:37], v[34:35], off
	s_clause 0x1
	global_load_b32 v38, v1, s[72:73]
	global_load_b32 v40, v1, s[70:71]
	s_add_co_i32 s75, s75, -1
	s_wait_xcnt 0x1
	s_add_nc_u64 s[72:73], s[72:73], -4
	s_cmp_eq_u32 s75, 0
	s_wait_xcnt 0x0
	s_add_nc_u64 s[70:71], s[70:71], -4
	s_wait_loadcnt 0x1
	v_pk_mul_f32 v[42:43], v[38:39], v[36:37] op_sel_hi:[0,1]
	s_wait_loadcnt 0x0
	v_pk_mul_f32 v[36:37], v[40:41], v[36:37] op_sel_hi:[0,1]
	s_delay_alu instid0(VALU_DEP_2) | instskip(NEXT) | instid1(VALU_DEP_2)
	v_pk_fma_f32 v[42:43], v[32:33], v[40:41], v[42:43] op_sel_hi:[1,0,1]
	v_pk_fma_f32 v[32:33], v[32:33], v[38:39], v[36:37] op_sel_hi:[1,0,1] neg_lo:[0,0,1] neg_hi:[0,0,1]
	global_store_b64 v[34:35], v[42:43], off
	s_wait_xcnt 0x0
	v_add_nc_u64_e32 v[34:35], s[44:45], v[34:35]
	s_cbranch_scc0 .LBB2_20
	s_branch .LBB2_18
.LBB2_21:                               ;   in Loop: Header=BB2_4 Depth=1
	s_or_b32 exec_lo, exec_lo, s47
	s_mov_b32 s47, 0
.LBB2_22:                               ;   in Loop: Header=BB2_4 Depth=1
	s_delay_alu instid0(SALU_CYCLE_1)
	s_and_not1_b32 vcc_lo, exec_lo, s47
	s_cbranch_vccnz .LBB2_29
; %bb.23:                               ;   in Loop: Header=BB2_4 Depth=1
	s_and_saveexec_b32 s47, s0
	s_cbranch_execz .LBB2_28
; %bb.24:                               ;   in Loop: Header=BB2_4 Depth=1
	v_mov_b64_e32 v[28:29], v[22:23]
	v_mov_b32_e32 v30, v0
	s_lshl_b64 s[68:69], s[28:29], 3
	s_mov_b32 s74, 0
	s_add_nc_u64 s[68:69], s[56:57], s[68:69]
	s_branch .LBB2_26
.LBB2_25:                               ;   in Loop: Header=BB2_26 Depth=2
	v_ashrrev_i32_e32 v31, 31, v30
	v_add_nc_u64_e32 v[28:29], s[40:41], v[28:29]
	s_delay_alu instid0(VALU_DEP_2)
	v_lshl_add_u64 v[34:35], v[30:31], 3, s[68:69]
	s_wait_xcnt 0x0
	v_add_nc_u32_e32 v30, s12, v30
	s_wait_loadcnt 0x0
	global_store_b64 v[34:35], v[32:33], off
	v_cmp_le_i32_e32 vcc_lo, s15, v30
	s_or_b32 s74, vcc_lo, s74
	s_wait_xcnt 0x0
	s_and_not1_b32 exec_lo, exec_lo, s74
	s_cbranch_execz .LBB2_28
.LBB2_26:                               ;   Parent Loop BB2_4 Depth=1
                                        ; =>  This Loop Header: Depth=2
                                        ;       Child Loop BB2_27 Depth 3
	global_load_b64 v[32:33], v30, s[68:69] scale_offset
	v_mov_b64_e32 v[34:35], v[28:29]
	s_and_not1_b32 vcc_lo, exec_lo, s87
	s_mov_b64 s[70:71], s[54:55]
	s_mov_b64 s[72:73], s[52:53]
	s_mov_b32 s75, s26
	s_cbranch_vccnz .LBB2_25
.LBB2_27:                               ;   Parent Loop BB2_4 Depth=1
                                        ;     Parent Loop BB2_26 Depth=2
                                        ; =>    This Inner Loop Header: Depth=3
	global_load_b64 v[36:37], v[34:35], off
	s_clause 0x1
	global_load_b32 v38, v1, s[72:73]
	global_load_b32 v40, v1, s[70:71]
	s_add_co_i32 s75, s75, -1
	s_wait_xcnt 0x1
	s_add_nc_u64 s[72:73], s[72:73], 4
	s_cmp_eq_u32 s75, 0
	s_wait_xcnt 0x0
	s_add_nc_u64 s[70:71], s[70:71], 4
	s_wait_loadcnt 0x1
	v_pk_mul_f32 v[42:43], v[38:39], v[36:37] op_sel_hi:[0,1]
	s_wait_loadcnt 0x0
	v_pk_mul_f32 v[36:37], v[40:41], v[36:37] op_sel_hi:[0,1]
	s_delay_alu instid0(VALU_DEP_2) | instskip(NEXT) | instid1(VALU_DEP_2)
	v_pk_fma_f32 v[42:43], v[32:33], v[40:41], v[42:43] op_sel_hi:[1,0,1]
	v_pk_fma_f32 v[32:33], v[32:33], v[38:39], v[36:37] op_sel_hi:[1,0,1] neg_lo:[0,0,1] neg_hi:[0,0,1]
	global_store_b64 v[34:35], v[42:43], off
	s_wait_xcnt 0x0
	v_add_nc_u64_e32 v[34:35], s[42:43], v[34:35]
	s_cbranch_scc0 .LBB2_27
	s_branch .LBB2_25
.LBB2_28:                               ;   in Loop: Header=BB2_4 Depth=1
	s_or_b32 exec_lo, exec_lo, s47
.LBB2_29:                               ;   in Loop: Header=BB2_4 Depth=1
	s_mov_b32 s47, 0
.LBB2_30:                               ;   in Loop: Header=BB2_4 Depth=1
	s_delay_alu instid0(SALU_CYCLE_1)
	s_and_not1_b32 vcc_lo, exec_lo, s47
	s_cbranch_vccnz .LBB2_37
; %bb.31:                               ;   in Loop: Header=BB2_4 Depth=1
	s_and_saveexec_b32 s47, s0
	s_cbranch_execz .LBB2_36
; %bb.32:                               ;   in Loop: Header=BB2_4 Depth=1
	v_mov_b64_e32 v[28:29], v[24:25]
	v_mov_b32_e32 v30, v0
	s_mov_b32 s72, 0
	s_branch .LBB2_34
.LBB2_33:                               ;   in Loop: Header=BB2_34 Depth=2
	v_ashrrev_i32_e32 v31, 31, v30
	v_add_nc_u64_e32 v[28:29], s[40:41], v[28:29]
	s_delay_alu instid0(VALU_DEP_2)
	v_lshl_add_u64 v[34:35], v[30:31], 3, s[56:57]
	s_wait_xcnt 0x0
	v_add_nc_u32_e32 v30, s12, v30
	s_wait_loadcnt 0x0
	global_store_b64 v[34:35], v[32:33], off
	v_cmp_le_i32_e32 vcc_lo, s15, v30
	s_or_b32 s72, vcc_lo, s72
	s_wait_xcnt 0x0
	s_and_not1_b32 exec_lo, exec_lo, s72
	s_cbranch_execz .LBB2_36
.LBB2_34:                               ;   Parent Loop BB2_4 Depth=1
                                        ; =>  This Loop Header: Depth=2
                                        ;       Child Loop BB2_35 Depth 3
	global_load_b64 v[32:33], v30, s[56:57] scale_offset
	v_mov_b64_e32 v[34:35], v[28:29]
	s_and_not1_b32 vcc_lo, exec_lo, s87
	s_mov_b64 s[68:69], s[66:67]
	s_mov_b64 s[70:71], s[64:65]
	s_mov_b32 s73, s27
	s_cbranch_vccnz .LBB2_33
.LBB2_35:                               ;   Parent Loop BB2_4 Depth=1
                                        ;     Parent Loop BB2_34 Depth=2
                                        ; =>    This Inner Loop Header: Depth=3
	s_clause 0x1
	global_load_b32 v36, v1, s[68:69]
	global_load_b32 v38, v1, s[70:71]
	global_load_b64 v[40:41], v[34:35], off
	s_add_co_i32 s73, s73, -1
	s_wait_xcnt 0x1
	s_add_nc_u64 s[70:71], s[70:71], -4
	s_cmp_lt_u32 s73, 3
	s_add_nc_u64 s[68:69], s[68:69], -4
	s_wait_loadcnt 0x2
	v_pk_mul_f32 v[42:43], v[32:33], v[36:37] op_sel_hi:[1,0]
	s_wait_loadcnt 0x0
	v_pk_mul_f32 v[36:37], v[36:37], v[40:41] op_sel_hi:[0,1]
	s_delay_alu instid0(VALU_DEP_2) | instskip(NEXT) | instid1(VALU_DEP_2)
	v_pk_fma_f32 v[42:43], v[38:39], v[40:41], v[42:43] op_sel_hi:[0,1,1] neg_lo:[0,0,1] neg_hi:[0,0,1]
	v_pk_fma_f32 v[32:33], v[32:33], v[38:39], v[36:37] op_sel_hi:[1,0,1]
	global_store_b64 v[34:35], v[42:43], off
	s_wait_xcnt 0x0
	v_add_nc_u64_e32 v[34:35], s[44:45], v[34:35]
	s_cbranch_scc0 .LBB2_35
	s_branch .LBB2_33
.LBB2_36:                               ;   in Loop: Header=BB2_4 Depth=1
	s_or_b32 exec_lo, exec_lo, s47
.LBB2_37:                               ;   in Loop: Header=BB2_4 Depth=1
	s_mov_b32 s47, 0
.LBB2_38:                               ;   in Loop: Header=BB2_4 Depth=1
	s_delay_alu instid0(SALU_CYCLE_1)
	s_and_not1_b32 vcc_lo, exec_lo, s47
	s_cbranch_vccnz .LBB2_45
; %bb.39:                               ;   in Loop: Header=BB2_4 Depth=1
	s_and_saveexec_b32 s47, s0
	s_cbranch_execz .LBB2_44
; %bb.40:                               ;   in Loop: Header=BB2_4 Depth=1
	v_add_nc_u64_e32 v[28:29], s[62:63], v[8:9]
	v_mov_b32_e32 v30, v0
	s_mov_b32 s72, 0
	s_branch .LBB2_42
.LBB2_41:                               ;   in Loop: Header=BB2_42 Depth=2
	v_ashrrev_i32_e32 v31, 31, v30
	v_add_nc_u64_e32 v[28:29], s[40:41], v[28:29]
	s_delay_alu instid0(VALU_DEP_2)
	v_lshl_add_u64 v[34:35], v[30:31], 3, s[56:57]
	s_wait_xcnt 0x0
	v_add_nc_u32_e32 v30, s12, v30
	s_wait_loadcnt 0x0
	global_store_b64 v[34:35], v[32:33], off
	v_cmp_le_i32_e32 vcc_lo, s15, v30
	s_or_b32 s72, vcc_lo, s72
	s_wait_xcnt 0x0
	s_and_not1_b32 exec_lo, exec_lo, s72
	s_cbranch_execz .LBB2_44
.LBB2_42:                               ;   Parent Loop BB2_4 Depth=1
                                        ; =>  This Loop Header: Depth=2
                                        ;       Child Loop BB2_43 Depth 3
	global_load_b64 v[32:33], v30, s[56:57] scale_offset
	v_mov_b64_e32 v[34:35], v[28:29]
	s_and_not1_b32 vcc_lo, exec_lo, s87
	s_mov_b32 s73, s26
	s_mov_b64 s[68:69], s[52:53]
	s_mov_b64 s[70:71], s[54:55]
	s_cbranch_vccnz .LBB2_41
.LBB2_43:                               ;   Parent Loop BB2_4 Depth=1
                                        ;     Parent Loop BB2_42 Depth=2
                                        ; =>    This Inner Loop Header: Depth=3
	s_clause 0x1
	global_load_b32 v36, v1, s[70:71]
	global_load_b32 v38, v1, s[68:69]
	global_load_b64 v[40:41], v[34:35], off
	s_add_co_i32 s73, s73, -1
	s_wait_xcnt 0x2
	s_add_nc_u64 s[70:71], s[70:71], 4
	s_cmp_eq_u32 s73, 0
	s_wait_xcnt 0x1
	s_add_nc_u64 s[68:69], s[68:69], 4
	s_wait_loadcnt 0x2
	v_pk_mul_f32 v[42:43], v[32:33], v[36:37] op_sel_hi:[1,0]
	s_wait_loadcnt 0x0
	v_pk_mul_f32 v[36:37], v[36:37], v[40:41] op_sel_hi:[0,1]
	s_delay_alu instid0(VALU_DEP_2) | instskip(NEXT) | instid1(VALU_DEP_2)
	v_pk_fma_f32 v[42:43], v[38:39], v[40:41], v[42:43] op_sel_hi:[0,1,1] neg_lo:[0,0,1] neg_hi:[0,0,1]
	v_pk_fma_f32 v[32:33], v[32:33], v[38:39], v[36:37] op_sel_hi:[1,0,1]
	global_store_b64 v[34:35], v[42:43], off
	s_wait_xcnt 0x0
	v_add_nc_u64_e32 v[34:35], s[42:43], v[34:35]
	s_cbranch_scc0 .LBB2_43
	s_branch .LBB2_41
.LBB2_44:                               ;   in Loop: Header=BB2_4 Depth=1
	s_or_b32 exec_lo, exec_lo, s47
.LBB2_45:                               ;   in Loop: Header=BB2_4 Depth=1
	s_mov_b32 s47, 0
.LBB2_46:                               ;   in Loop: Header=BB2_4 Depth=1
	s_delay_alu instid0(SALU_CYCLE_1)
	s_and_not1_b32 vcc_lo, exec_lo, s47
	s_cbranch_vccnz .LBB2_54
; %bb.47:                               ;   in Loop: Header=BB2_4 Depth=1
	s_and_saveexec_b32 s47, s0
	s_cbranch_execz .LBB2_53
; %bb.48:                               ;   in Loop: Header=BB2_4 Depth=1
	v_mov_b32_e32 v28, v0
	s_lshl_b64 s[68:69], s[28:29], 3
	s_mov_b32 s89, 0
	s_add_nc_u64 s[68:69], s[56:57], s[68:69]
	s_branch .LBB2_50
.LBB2_49:                               ;   in Loop: Header=BB2_50 Depth=2
	v_ashrrev_i32_e32 v29, 31, v28
	v_add_nc_u64_e32 v[24:25], s[40:41], v[24:25]
	v_add_nc_u64_e32 v[26:27], s[40:41], v[26:27]
	s_delay_alu instid0(VALU_DEP_3)
	v_lshl_add_u64 v[32:33], v[28:29], 3, s[56:57]
	s_wait_xcnt 0x0
	v_add_nc_u32_e32 v28, s12, v28
	s_wait_loadcnt 0x0
	global_store_b64 v[32:33], v[30:31], off
	v_cmp_le_i32_e32 vcc_lo, s15, v28
	s_or_b32 s89, vcc_lo, s89
	s_wait_xcnt 0x0
	s_and_not1_b32 exec_lo, exec_lo, s89
	s_cbranch_execz .LBB2_53
.LBB2_50:                               ;   Parent Loop BB2_4 Depth=1
                                        ; =>  This Loop Header: Depth=2
                                        ;       Child Loop BB2_52 Depth 3
	global_load_b64 v[30:31], v28, s[68:69] scale_offset
	s_and_not1_b32 vcc_lo, exec_lo, s87
	s_cbranch_vccnz .LBB2_49
; %bb.51:                               ;   in Loop: Header=BB2_50 Depth=2
	s_mov_b64 s[70:71], 0
	s_mov_b64 s[72:73], s[66:67]
	s_mov_b64 s[74:75], s[64:65]
	s_mov_b32 s90, s26
.LBB2_52:                               ;   Parent Loop BB2_4 Depth=1
                                        ;     Parent Loop BB2_50 Depth=2
                                        ; =>    This Inner Loop Header: Depth=3
	v_add_nc_u64_e32 v[32:33], s[70:71], v[26:27]
	s_wait_xcnt 0x0
	v_add_nc_u64_e32 v[40:41], s[70:71], v[24:25]
	s_add_co_i32 s90, s90, -1
	s_sub_nc_u64 s[70:71], s[70:71], s[42:43]
	s_cmp_eq_u32 s90, 0
	s_clause 0x1
	global_load_b32 v34, v1, s[74:75]
	global_load_b32 v36, v1, s[72:73]
	global_load_b64 v[32:33], v[32:33], off
	s_wait_xcnt 0x2
	s_add_nc_u64 s[74:75], s[74:75], -4
	s_wait_xcnt 0x1
	s_add_nc_u64 s[72:73], s[72:73], -4
	s_wait_loadcnt 0x0
	v_pk_mul_f32 v[38:39], v[36:37], v[32:33] op_sel_hi:[0,1]
	s_wait_xcnt 0x0
	v_pk_mul_f32 v[32:33], v[34:35], v[32:33] op_sel_hi:[0,1]
	s_delay_alu instid0(VALU_DEP_2) | instskip(NEXT) | instid1(VALU_DEP_2)
	v_pk_fma_f32 v[34:35], v[30:31], v[34:35], v[38:39] op_sel_hi:[1,0,1] neg_lo:[0,0,1] neg_hi:[0,0,1]
	v_pk_fma_f32 v[30:31], v[30:31], v[36:37], v[32:33] op_sel_hi:[1,0,1]
	global_store_b64 v[40:41], v[34:35], off
	s_cbranch_scc0 .LBB2_52
	s_branch .LBB2_49
.LBB2_53:                               ;   in Loop: Header=BB2_4 Depth=1
	s_or_b32 exec_lo, exec_lo, s47
.LBB2_54:                               ;   in Loop: Header=BB2_4 Depth=1
	s_mov_b32 s47, 0
.LBB2_55:                               ;   in Loop: Header=BB2_4 Depth=1
	s_delay_alu instid0(SALU_CYCLE_1)
	s_and_not1_b32 vcc_lo, exec_lo, s47
	s_cbranch_vccnz .LBB2_62
; %bb.56:                               ;   in Loop: Header=BB2_4 Depth=1
	s_and_saveexec_b32 s47, s0
	s_cbranch_execz .LBB2_61
; %bb.57:                               ;   in Loop: Header=BB2_4 Depth=1
	v_mov_b32_e32 v24, v0
	s_lshl_b64 s[64:65], s[28:29], 3
	s_mov_b32 s70, 0
	s_add_nc_u64 s[64:65], s[56:57], s[64:65]
	s_branch .LBB2_59
.LBB2_58:                               ;   in Loop: Header=BB2_59 Depth=2
	v_ashrrev_i32_e32 v25, 31, v24
	v_add_nc_u64_e32 v[22:23], s[40:41], v[22:23]
	s_delay_alu instid0(VALU_DEP_2)
	v_lshl_add_u64 v[28:29], v[24:25], 3, s[64:65]
	s_wait_xcnt 0x0
	v_add_nc_u32_e32 v24, s12, v24
	s_wait_loadcnt 0x0
	global_store_b64 v[28:29], v[26:27], off
	v_cmp_le_i32_e32 vcc_lo, s15, v24
	s_or_b32 s70, vcc_lo, s70
	s_wait_xcnt 0x0
	s_and_not1_b32 exec_lo, exec_lo, s70
	s_cbranch_execz .LBB2_61
.LBB2_59:                               ;   Parent Loop BB2_4 Depth=1
                                        ; =>  This Loop Header: Depth=2
                                        ;       Child Loop BB2_60 Depth 3
	global_load_b64 v[26:27], v24, s[56:57] scale_offset
	v_mov_b64_e32 v[28:29], v[22:23]
	s_and_not1_b32 vcc_lo, exec_lo, s87
	s_mov_b64 s[66:67], s[54:55]
	s_mov_b64 s[68:69], s[52:53]
	s_mov_b32 s71, s26
	s_cbranch_vccnz .LBB2_58
.LBB2_60:                               ;   Parent Loop BB2_4 Depth=1
                                        ;     Parent Loop BB2_59 Depth=2
                                        ; =>    This Inner Loop Header: Depth=3
	s_delay_alu instid0(VALU_DEP_1)
	v_add_nc_u64_e32 v[30:31], s[42:43], v[28:29]
	s_add_co_i32 s71, s71, -1
	global_load_b64 v[32:33], v[30:31], off
	s_clause 0x1
	global_load_b32 v34, v1, s[66:67]
	global_load_b32 v36, v1, s[68:69]
	s_wait_xcnt 0x0
	s_add_nc_u64 s[68:69], s[68:69], 4
	s_cmp_eq_u32 s71, 0
	s_add_nc_u64 s[66:67], s[66:67], 4
	s_wait_loadcnt 0x1
	v_pk_mul_f32 v[38:39], v[34:35], v[32:33] op_sel_hi:[0,1]
	v_pk_mul_f32 v[34:35], v[26:27], v[34:35] op_sel_hi:[1,0]
	s_wait_loadcnt 0x0
	s_delay_alu instid0(VALU_DEP_2) | instskip(NEXT) | instid1(VALU_DEP_2)
	v_pk_fma_f32 v[38:39], v[26:27], v[36:37], v[38:39] op_sel_hi:[1,0,1]
	v_pk_fma_f32 v[26:27], v[36:37], v[32:33], v[34:35] op_sel_hi:[0,1,1] neg_lo:[0,0,1] neg_hi:[0,0,1]
	global_store_b64 v[28:29], v[38:39], off
	s_wait_xcnt 0x0
	v_mov_b64_e32 v[28:29], v[30:31]
	s_cbranch_scc0 .LBB2_60
	s_branch .LBB2_58
.LBB2_61:                               ;   in Loop: Header=BB2_4 Depth=1
	s_or_b32 exec_lo, exec_lo, s47
.LBB2_62:                               ;   in Loop: Header=BB2_4 Depth=1
	s_mov_b32 s47, 0
.LBB2_63:                               ;   in Loop: Header=BB2_4 Depth=1
	s_delay_alu instid0(SALU_CYCLE_1)
	s_and_not1_b32 vcc_lo, exec_lo, s47
	s_cbranch_vccnz .LBB2_70
; %bb.64:                               ;   in Loop: Header=BB2_4 Depth=1
	s_and_saveexec_b32 s47, s1
	s_cbranch_execz .LBB2_69
; %bb.65:                               ;   in Loop: Header=BB2_4 Depth=1
	v_add_nc_u64_e32 v[22:23], s[62:63], v[12:13]
	v_mov_b32_e32 v24, v0
	s_lshl_b64 s[64:65], s[30:31], 3
	s_mov_b32 s70, 0
	s_add_nc_u64 s[64:65], s[56:57], s[64:65]
	s_branch .LBB2_67
.LBB2_66:                               ;   in Loop: Header=BB2_67 Depth=2
	v_add_nc_u32_e32 v24, s12, v24
	v_add_nc_u64_e32 v[22:23], s[50:51], v[22:23]
	s_wait_loadcnt 0x0
	global_store_b64 v[26:27], v[28:29], off offset:-8
	v_cmp_le_i32_e32 vcc_lo, s23, v24
	s_or_b32 s70, vcc_lo, s70
	s_wait_xcnt 0x0
	s_and_not1_b32 exec_lo, exec_lo, s70
	s_cbranch_execz .LBB2_69
.LBB2_67:                               ;   Parent Loop BB2_4 Depth=1
                                        ; =>  This Loop Header: Depth=2
                                        ;       Child Loop BB2_68 Depth 3
	v_ashrrev_i32_e32 v25, 31, v24
	v_mov_b64_e32 v[30:31], v[22:23]
	s_and_not1_b32 vcc_lo, exec_lo, s88
	s_mov_b64 s[66:67], s[60:61]
	s_mov_b64 s[68:69], s[58:59]
	v_mul_u64_e32 v[26:27], s[20:21], v[24:25]
	s_mov_b32 s71, s46
	s_delay_alu instid0(VALU_DEP_1)
	v_lshl_add_u64 v[26:27], v[26:27], 3, s[64:65]
	global_load_b64 v[28:29], v[26:27], off offset:-8
	s_cbranch_vccnz .LBB2_66
.LBB2_68:                               ;   Parent Loop BB2_4 Depth=1
                                        ;     Parent Loop BB2_67 Depth=2
                                        ; =>    This Inner Loop Header: Depth=3
	global_load_b64 v[32:33], v[30:31], off
	s_clause 0x1
	global_load_b32 v34, v1, s[68:69]
	global_load_b32 v36, v1, s[66:67]
	s_add_co_i32 s71, s71, -1
	s_wait_xcnt 0x1
	s_add_nc_u64 s[68:69], s[68:69], -4
	s_cmp_eq_u32 s71, 0
	s_wait_xcnt 0x0
	s_add_nc_u64 s[66:67], s[66:67], -4
	s_wait_loadcnt 0x1
	v_pk_mul_f32 v[38:39], v[34:35], v[32:33] op_sel_hi:[0,1]
	s_wait_loadcnt 0x0
	v_pk_mul_f32 v[32:33], v[36:37], v[32:33] op_sel_hi:[0,1]
	s_delay_alu instid0(VALU_DEP_2) | instskip(NEXT) | instid1(VALU_DEP_2)
	v_pk_fma_f32 v[38:39], v[28:29], v[36:37], v[38:39] op_sel_hi:[1,0,1]
	v_pk_fma_f32 v[28:29], v[28:29], v[34:35], v[32:33] op_sel_hi:[1,0,1] neg_lo:[0,0,1] neg_hi:[0,0,1]
	global_store_b64 v[30:31], v[38:39], off
	s_wait_xcnt 0x0
	v_add_nc_u64_e32 v[30:31], -8, v[30:31]
	s_cbranch_scc0 .LBB2_68
	s_branch .LBB2_66
.LBB2_69:                               ;   in Loop: Header=BB2_4 Depth=1
	s_or_b32 exec_lo, exec_lo, s47
.LBB2_70:                               ;   in Loop: Header=BB2_4 Depth=1
	s_mov_b32 s47, 0
.LBB2_71:                               ;   in Loop: Header=BB2_4 Depth=1
	s_delay_alu instid0(SALU_CYCLE_1)
	s_and_not1_b32 vcc_lo, exec_lo, s47
	s_cbranch_vccnz .LBB2_78
; %bb.72:                               ;   in Loop: Header=BB2_4 Depth=1
	s_and_saveexec_b32 s47, s1
	s_cbranch_execz .LBB2_77
; %bb.73:                               ;   in Loop: Header=BB2_4 Depth=1
	v_add_nc_u64_e32 v[22:23], s[62:63], v[10:11]
	v_mov_b32_e32 v24, v0
	s_lshl_b64 s[64:65], s[30:31], 3
	s_mov_b32 s70, 0
	s_add_nc_u64 s[64:65], s[56:57], s[64:65]
	s_branch .LBB2_75
.LBB2_74:                               ;   in Loop: Header=BB2_75 Depth=2
	v_add_nc_u32_e32 v24, s12, v24
	v_add_nc_u64_e32 v[22:23], s[50:51], v[22:23]
	s_wait_loadcnt 0x0
	global_store_b64 v[26:27], v[28:29], off offset:-8
	v_cmp_le_i32_e32 vcc_lo, s23, v24
	s_or_b32 s70, vcc_lo, s70
	s_wait_xcnt 0x0
	s_and_not1_b32 exec_lo, exec_lo, s70
	s_cbranch_execz .LBB2_77
.LBB2_75:                               ;   Parent Loop BB2_4 Depth=1
                                        ; =>  This Loop Header: Depth=2
                                        ;       Child Loop BB2_76 Depth 3
	v_ashrrev_i32_e32 v25, 31, v24
	v_mov_b64_e32 v[30:31], v[22:23]
	s_and_not1_b32 vcc_lo, exec_lo, s88
	s_mov_b64 s[66:67], s[54:55]
	s_mov_b64 s[68:69], s[52:53]
	v_mul_u64_e32 v[26:27], s[20:21], v[24:25]
	s_mov_b32 s71, s46
	s_delay_alu instid0(VALU_DEP_1)
	v_lshl_add_u64 v[26:27], v[26:27], 3, s[64:65]
	global_load_b64 v[28:29], v[26:27], off offset:-8
	s_cbranch_vccnz .LBB2_74
.LBB2_76:                               ;   Parent Loop BB2_4 Depth=1
                                        ;     Parent Loop BB2_75 Depth=2
                                        ; =>    This Inner Loop Header: Depth=3
	global_load_b64 v[32:33], v[30:31], off
	s_clause 0x1
	global_load_b32 v34, v1, s[68:69]
	global_load_b32 v36, v1, s[66:67]
	s_add_co_i32 s71, s71, -1
	s_wait_xcnt 0x1
	s_add_nc_u64 s[68:69], s[68:69], 4
	s_cmp_eq_u32 s71, 0
	s_wait_xcnt 0x0
	s_add_nc_u64 s[66:67], s[66:67], 4
	s_wait_loadcnt 0x1
	v_pk_mul_f32 v[38:39], v[34:35], v[32:33] op_sel_hi:[0,1]
	s_wait_loadcnt 0x0
	v_pk_mul_f32 v[32:33], v[36:37], v[32:33] op_sel_hi:[0,1]
	s_delay_alu instid0(VALU_DEP_2) | instskip(NEXT) | instid1(VALU_DEP_2)
	v_pk_fma_f32 v[38:39], v[28:29], v[36:37], v[38:39] op_sel_hi:[1,0,1]
	v_pk_fma_f32 v[28:29], v[28:29], v[34:35], v[32:33] op_sel_hi:[1,0,1] neg_lo:[0,0,1] neg_hi:[0,0,1]
	global_store_b64 v[30:31], v[38:39], off
	s_wait_xcnt 0x0
	v_add_nc_u64_e32 v[30:31], 8, v[30:31]
	s_cbranch_scc0 .LBB2_76
	s_branch .LBB2_74
.LBB2_77:                               ;   in Loop: Header=BB2_4 Depth=1
	s_or_b32 exec_lo, exec_lo, s47
.LBB2_78:                               ;   in Loop: Header=BB2_4 Depth=1
	s_mov_b32 s47, 0
.LBB2_79:                               ;   in Loop: Header=BB2_4 Depth=1
	s_delay_alu instid0(SALU_CYCLE_1)
	s_and_not1_b32 vcc_lo, exec_lo, s47
	s_cbranch_vccnz .LBB2_86
; %bb.80:                               ;   in Loop: Header=BB2_4 Depth=1
	s_and_saveexec_b32 s47, s1
	s_cbranch_execz .LBB2_85
; %bb.81:                               ;   in Loop: Header=BB2_4 Depth=1
	v_add_nc_u64_e32 v[22:23], s[62:63], v[14:15]
	v_mov_b32_e32 v24, v0
	s_mov_b32 s68, 0
	s_branch .LBB2_83
.LBB2_82:                               ;   in Loop: Header=BB2_83 Depth=2
	v_add_nc_u32_e32 v24, s12, v24
	v_add_nc_u64_e32 v[22:23], s[50:51], v[22:23]
	s_wait_loadcnt 0x0
	global_store_b64 v[26:27], v[28:29], off
	v_cmp_le_i32_e32 vcc_lo, s23, v24
	s_or_b32 s68, vcc_lo, s68
	s_wait_xcnt 0x0
	s_and_not1_b32 exec_lo, exec_lo, s68
	s_cbranch_execz .LBB2_85
.LBB2_83:                               ;   Parent Loop BB2_4 Depth=1
                                        ; =>  This Loop Header: Depth=2
                                        ;       Child Loop BB2_84 Depth 3
	s_delay_alu instid0(VALU_DEP_1) | instskip(NEXT) | instid1(VALU_DEP_3)
	v_ashrrev_i32_e32 v25, 31, v24
	v_mov_b64_e32 v[30:31], v[22:23]
	s_and_not1_b32 vcc_lo, exec_lo, s88
	s_mov_b64 s[64:65], s[60:61]
	s_mov_b64 s[66:67], s[58:59]
	v_mul_u64_e32 v[26:27], s[20:21], v[24:25]
	s_mov_b32 s69, s13
	s_delay_alu instid0(VALU_DEP_1)
	v_lshl_add_u64 v[26:27], v[26:27], 3, s[56:57]
	global_load_b64 v[28:29], v[26:27], off
	s_cbranch_vccnz .LBB2_82
.LBB2_84:                               ;   Parent Loop BB2_4 Depth=1
                                        ;     Parent Loop BB2_83 Depth=2
                                        ; =>    This Inner Loop Header: Depth=3
	s_clause 0x1
	global_load_b32 v32, v1, s[64:65]
	global_load_b32 v34, v1, s[66:67]
	global_load_b64 v[36:37], v[30:31], off
	s_add_co_i32 s69, s69, -1
	s_wait_xcnt 0x1
	s_add_nc_u64 s[66:67], s[66:67], -4
	s_cmp_lt_u32 s69, 3
	s_add_nc_u64 s[64:65], s[64:65], -4
	s_wait_loadcnt 0x2
	v_pk_mul_f32 v[38:39], v[28:29], v[32:33] op_sel_hi:[1,0]
	s_wait_loadcnt 0x0
	v_pk_mul_f32 v[32:33], v[32:33], v[36:37] op_sel_hi:[0,1]
	s_delay_alu instid0(VALU_DEP_2) | instskip(NEXT) | instid1(VALU_DEP_2)
	v_pk_fma_f32 v[38:39], v[34:35], v[36:37], v[38:39] op_sel_hi:[0,1,1] neg_lo:[0,0,1] neg_hi:[0,0,1]
	v_pk_fma_f32 v[28:29], v[28:29], v[34:35], v[32:33] op_sel_hi:[1,0,1]
	global_store_b64 v[30:31], v[38:39], off
	s_wait_xcnt 0x0
	v_add_nc_u64_e32 v[30:31], -8, v[30:31]
	s_cbranch_scc0 .LBB2_84
	s_branch .LBB2_82
.LBB2_85:                               ;   in Loop: Header=BB2_4 Depth=1
	s_or_b32 exec_lo, exec_lo, s47
.LBB2_86:                               ;   in Loop: Header=BB2_4 Depth=1
	s_mov_b32 s47, 0
.LBB2_87:                               ;   in Loop: Header=BB2_4 Depth=1
	s_delay_alu instid0(SALU_CYCLE_1)
	s_and_not1_b32 vcc_lo, exec_lo, s47
	s_cbranch_vccnz .LBB2_94
; %bb.88:                               ;   in Loop: Header=BB2_4 Depth=1
	s_and_saveexec_b32 s47, s1
	s_cbranch_execz .LBB2_93
; %bb.89:                               ;   in Loop: Header=BB2_4 Depth=1
	v_mov_b64_e32 v[22:23], v[20:21]
	v_mov_b32_e32 v24, v0
	s_mov_b32 s68, 0
	s_branch .LBB2_91
.LBB2_90:                               ;   in Loop: Header=BB2_91 Depth=2
	v_add_nc_u32_e32 v24, s12, v24
	v_add_nc_u64_e32 v[22:23], s[50:51], v[22:23]
	s_wait_loadcnt 0x0
	global_store_b64 v[26:27], v[28:29], off
	v_cmp_le_i32_e32 vcc_lo, s23, v24
	s_or_b32 s68, vcc_lo, s68
	s_wait_xcnt 0x0
	s_and_not1_b32 exec_lo, exec_lo, s68
	s_cbranch_execz .LBB2_93
.LBB2_91:                               ;   Parent Loop BB2_4 Depth=1
                                        ; =>  This Loop Header: Depth=2
                                        ;       Child Loop BB2_92 Depth 3
	s_delay_alu instid0(VALU_DEP_1) | instskip(NEXT) | instid1(VALU_DEP_3)
	v_ashrrev_i32_e32 v25, 31, v24
	v_mov_b64_e32 v[30:31], v[22:23]
	s_and_not1_b32 vcc_lo, exec_lo, s88
	s_mov_b32 s69, s46
	s_mov_b64 s[64:65], s[52:53]
	v_mul_u64_e32 v[26:27], s[20:21], v[24:25]
	s_mov_b64 s[66:67], s[54:55]
	s_delay_alu instid0(VALU_DEP_1)
	v_lshl_add_u64 v[26:27], v[26:27], 3, s[56:57]
	global_load_b64 v[28:29], v[26:27], off
	s_cbranch_vccnz .LBB2_90
.LBB2_92:                               ;   Parent Loop BB2_4 Depth=1
                                        ;     Parent Loop BB2_91 Depth=2
                                        ; =>    This Inner Loop Header: Depth=3
	s_clause 0x1
	global_load_b32 v32, v1, s[66:67]
	global_load_b32 v34, v1, s[64:65]
	global_load_b64 v[36:37], v[30:31], off
	s_add_co_i32 s69, s69, -1
	s_wait_xcnt 0x2
	s_add_nc_u64 s[66:67], s[66:67], 4
	s_cmp_eq_u32 s69, 0
	s_wait_xcnt 0x1
	s_add_nc_u64 s[64:65], s[64:65], 4
	s_wait_loadcnt 0x2
	v_pk_mul_f32 v[38:39], v[28:29], v[32:33] op_sel_hi:[1,0]
	s_wait_loadcnt 0x0
	v_pk_mul_f32 v[32:33], v[32:33], v[36:37] op_sel_hi:[0,1]
	s_delay_alu instid0(VALU_DEP_2) | instskip(NEXT) | instid1(VALU_DEP_2)
	v_pk_fma_f32 v[38:39], v[34:35], v[36:37], v[38:39] op_sel_hi:[0,1,1] neg_lo:[0,0,1] neg_hi:[0,0,1]
	v_pk_fma_f32 v[28:29], v[28:29], v[34:35], v[32:33] op_sel_hi:[1,0,1]
	global_store_b64 v[30:31], v[38:39], off
	s_wait_xcnt 0x0
	v_add_nc_u64_e32 v[30:31], 8, v[30:31]
	s_cbranch_scc0 .LBB2_92
	s_branch .LBB2_90
.LBB2_93:                               ;   in Loop: Header=BB2_4 Depth=1
	s_or_b32 exec_lo, exec_lo, s47
.LBB2_94:                               ;   in Loop: Header=BB2_4 Depth=1
	s_mov_b32 s47, 0
.LBB2_95:                               ;   in Loop: Header=BB2_4 Depth=1
	s_delay_alu instid0(SALU_CYCLE_1)
	s_and_not1_b32 vcc_lo, exec_lo, s47
	s_cbranch_vccnz .LBB2_102
; %bb.96:                               ;   in Loop: Header=BB2_4 Depth=1
	s_and_saveexec_b32 s47, s1
	s_cbranch_execz .LBB2_101
; %bb.97:                               ;   in Loop: Header=BB2_4 Depth=1
	v_add_nc_u64_e32 v[22:23], s[62:63], v[18:19]
	v_mov_b32_e32 v24, v0
	s_lshl_b64 s[62:63], s[30:31], 3
	s_mov_b32 s68, 0
	s_add_nc_u64 s[62:63], s[56:57], s[62:63]
	s_branch .LBB2_99
.LBB2_98:                               ;   in Loop: Header=BB2_99 Depth=2
	v_add_nc_u32_e32 v24, s12, v24
	v_add_nc_u64_e32 v[22:23], s[50:51], v[22:23]
	v_lshl_add_u64 v[26:27], v[26:27], 3, s[56:57]
	s_delay_alu instid0(VALU_DEP_3)
	v_cmp_le_i32_e32 vcc_lo, s23, v24
	s_wait_loadcnt 0x0
	global_store_b64 v[26:27], v[28:29], off
	s_or_b32 s68, vcc_lo, s68
	s_wait_xcnt 0x0
	s_and_not1_b32 exec_lo, exec_lo, s68
	s_cbranch_execz .LBB2_101
.LBB2_99:                               ;   Parent Loop BB2_4 Depth=1
                                        ; =>  This Loop Header: Depth=2
                                        ;       Child Loop BB2_100 Depth 3
	v_ashrrev_i32_e32 v25, 31, v24
	v_mov_b64_e32 v[30:31], v[22:23]
	s_and_not1_b32 vcc_lo, exec_lo, s88
	s_mov_b64 s[64:65], s[60:61]
	s_mov_b64 s[66:67], s[58:59]
	v_mul_u64_e32 v[26:27], s[20:21], v[24:25]
	s_mov_b32 s69, s46
	s_delay_alu instid0(VALU_DEP_1)
	v_lshl_add_u64 v[28:29], v[26:27], 3, s[62:63]
	global_load_b64 v[28:29], v[28:29], off offset:-8
	s_cbranch_vccnz .LBB2_98
.LBB2_100:                              ;   Parent Loop BB2_4 Depth=1
                                        ;     Parent Loop BB2_99 Depth=2
                                        ; =>    This Inner Loop Header: Depth=3
	global_load_b64 v[32:33], v[30:31], off offset:-8
	s_clause 0x1
	global_load_b32 v34, v1, s[64:65]
	global_load_b32 v36, v1, s[66:67]
	v_add_nc_u64_e32 v[40:41], -8, v[30:31]
	s_add_co_i32 s69, s69, -1
	s_wait_xcnt 0x0
	s_add_nc_u64 s[66:67], s[66:67], -4
	s_cmp_eq_u32 s69, 0
	s_add_nc_u64 s[64:65], s[64:65], -4
	s_wait_loadcnt 0x1
	v_pk_mul_f32 v[38:39], v[34:35], v[32:33] op_sel_hi:[0,1]
	s_wait_loadcnt 0x0
	v_pk_mul_f32 v[32:33], v[36:37], v[32:33] op_sel_hi:[0,1]
	s_delay_alu instid0(VALU_DEP_2) | instskip(NEXT) | instid1(VALU_DEP_2)
	v_pk_fma_f32 v[36:37], v[28:29], v[36:37], v[38:39] op_sel_hi:[1,0,1] neg_lo:[0,0,1] neg_hi:[0,0,1]
	v_pk_fma_f32 v[28:29], v[28:29], v[34:35], v[32:33] op_sel_hi:[1,0,1]
	global_store_b64 v[30:31], v[36:37], off
	s_wait_xcnt 0x0
	v_mov_b64_e32 v[30:31], v[40:41]
	s_cbranch_scc0 .LBB2_100
	s_branch .LBB2_98
.LBB2_101:                              ;   in Loop: Header=BB2_4 Depth=1
	s_or_b32 exec_lo, exec_lo, s47
.LBB2_102:                              ;   in Loop: Header=BB2_4 Depth=1
	s_cbranch_execnz .LBB2_3
.LBB2_103:                              ;   in Loop: Header=BB2_4 Depth=1
	s_and_saveexec_b32 s47, s1
	s_cbranch_execz .LBB2_2
; %bb.104:                              ;   in Loop: Header=BB2_4 Depth=1
	v_mov_b32_e32 v22, v0
	s_lshl_b64 s[58:59], s[30:31], 3
	s_mov_b32 s64, 0
	s_add_nc_u64 s[58:59], s[56:57], s[58:59]
	s_branch .LBB2_106
.LBB2_105:                              ;   in Loop: Header=BB2_106 Depth=2
	v_add_nc_u32_e32 v22, s12, v22
	v_add_nc_u64_e32 v[20:21], s[50:51], v[20:21]
	v_lshl_add_u64 v[24:25], v[24:25], 3, s[58:59]
	s_delay_alu instid0(VALU_DEP_3)
	v_cmp_le_i32_e32 vcc_lo, s23, v22
	s_wait_loadcnt 0x0
	global_store_b64 v[24:25], v[26:27], off offset:-8
	s_or_b32 s64, vcc_lo, s64
	s_wait_xcnt 0x0
	s_and_not1_b32 exec_lo, exec_lo, s64
	s_cbranch_execz .LBB2_2
.LBB2_106:                              ;   Parent Loop BB2_4 Depth=1
                                        ; =>  This Loop Header: Depth=2
                                        ;       Child Loop BB2_107 Depth 3
	v_ashrrev_i32_e32 v23, 31, v22
	v_mov_b64_e32 v[28:29], v[20:21]
	s_and_not1_b32 vcc_lo, exec_lo, s88
	s_mov_b64 s[60:61], s[54:55]
	s_mov_b64 s[62:63], s[52:53]
	v_mul_u64_e32 v[24:25], s[20:21], v[22:23]
	s_mov_b32 s65, s46
	s_delay_alu instid0(VALU_DEP_1)
	v_lshl_add_u64 v[26:27], v[24:25], 3, s[56:57]
	global_load_b64 v[26:27], v[26:27], off
	s_cbranch_vccnz .LBB2_105
.LBB2_107:                              ;   Parent Loop BB2_4 Depth=1
                                        ;     Parent Loop BB2_106 Depth=2
                                        ; =>    This Inner Loop Header: Depth=3
	global_load_b64 v[30:31], v[28:29], off
	s_clause 0x1
	global_load_b32 v32, v1, s[60:61]
	global_load_b32 v34, v1, s[62:63]
	s_add_co_i32 s65, s65, -1
	s_wait_xcnt 0x0
	s_add_nc_u64 s[62:63], s[62:63], 4
	s_cmp_eq_u32 s65, 0
	s_add_nc_u64 s[60:61], s[60:61], 4
	s_wait_loadcnt 0x1
	v_pk_mul_f32 v[36:37], v[32:33], v[30:31] op_sel_hi:[0,1]
	s_wait_loadcnt 0x0
	s_delay_alu instid0(VALU_DEP_1)
	v_pk_fma_f32 v[36:37], v[26:27], v[34:35], v[36:37] op_sel_hi:[1,0,1]
	v_pk_mul_f32 v[26:27], v[26:27], v[32:33] op_sel_hi:[1,0]
	global_store_b64 v[28:29], v[36:37], off offset:-8
	s_wait_xcnt 0x0
	v_add_nc_u64_e32 v[28:29], 8, v[28:29]
	v_pk_fma_f32 v[26:27], v[34:35], v[30:31], v[26:27] op_sel_hi:[0,1,1] neg_lo:[0,0,1] neg_hi:[0,0,1]
	s_cbranch_scc0 .LBB2_107
	s_branch .LBB2_105
.LBB2_108:
	s_endpgm
	.section	.rodata,"a",@progbits
	.p2align	6, 0x0
	.amdhsa_kernel _ZN9rocsolver6v33100L11lasr_kernelI19rocblas_complex_numIfEfPS3_iEEv13rocblas_side_14rocblas_pivot_15rocblas_direct_T2_S8_PT0_lSA_lT1_lS8_lS8_
		.amdhsa_group_segment_fixed_size 0
		.amdhsa_private_segment_fixed_size 0
		.amdhsa_kernarg_size 352
		.amdhsa_user_sgpr_count 2
		.amdhsa_user_sgpr_dispatch_ptr 0
		.amdhsa_user_sgpr_queue_ptr 0
		.amdhsa_user_sgpr_kernarg_segment_ptr 1
		.amdhsa_user_sgpr_dispatch_id 0
		.amdhsa_user_sgpr_kernarg_preload_length 0
		.amdhsa_user_sgpr_kernarg_preload_offset 0
		.amdhsa_user_sgpr_private_segment_size 0
		.amdhsa_wavefront_size32 1
		.amdhsa_uses_dynamic_stack 0
		.amdhsa_enable_private_segment 0
		.amdhsa_system_sgpr_workgroup_id_x 1
		.amdhsa_system_sgpr_workgroup_id_y 0
		.amdhsa_system_sgpr_workgroup_id_z 1
		.amdhsa_system_sgpr_workgroup_info 0
		.amdhsa_system_vgpr_workitem_id 0
		.amdhsa_next_free_vgpr 44
		.amdhsa_next_free_sgpr 91
		.amdhsa_named_barrier_count 0
		.amdhsa_reserve_vcc 1
		.amdhsa_float_round_mode_32 0
		.amdhsa_float_round_mode_16_64 0
		.amdhsa_float_denorm_mode_32 3
		.amdhsa_float_denorm_mode_16_64 3
		.amdhsa_fp16_overflow 0
		.amdhsa_memory_ordered 1
		.amdhsa_forward_progress 1
		.amdhsa_inst_pref_size 34
		.amdhsa_round_robin_scheduling 0
		.amdhsa_exception_fp_ieee_invalid_op 0
		.amdhsa_exception_fp_denorm_src 0
		.amdhsa_exception_fp_ieee_div_zero 0
		.amdhsa_exception_fp_ieee_overflow 0
		.amdhsa_exception_fp_ieee_underflow 0
		.amdhsa_exception_fp_ieee_inexact 0
		.amdhsa_exception_int_div_zero 0
	.end_amdhsa_kernel
	.section	.text._ZN9rocsolver6v33100L11lasr_kernelI19rocblas_complex_numIfEfPS3_iEEv13rocblas_side_14rocblas_pivot_15rocblas_direct_T2_S8_PT0_lSA_lT1_lS8_lS8_,"axG",@progbits,_ZN9rocsolver6v33100L11lasr_kernelI19rocblas_complex_numIfEfPS3_iEEv13rocblas_side_14rocblas_pivot_15rocblas_direct_T2_S8_PT0_lSA_lT1_lS8_lS8_,comdat
.Lfunc_end2:
	.size	_ZN9rocsolver6v33100L11lasr_kernelI19rocblas_complex_numIfEfPS3_iEEv13rocblas_side_14rocblas_pivot_15rocblas_direct_T2_S8_PT0_lSA_lT1_lS8_lS8_, .Lfunc_end2-_ZN9rocsolver6v33100L11lasr_kernelI19rocblas_complex_numIfEfPS3_iEEv13rocblas_side_14rocblas_pivot_15rocblas_direct_T2_S8_PT0_lSA_lT1_lS8_lS8_
                                        ; -- End function
	.set _ZN9rocsolver6v33100L11lasr_kernelI19rocblas_complex_numIfEfPS3_iEEv13rocblas_side_14rocblas_pivot_15rocblas_direct_T2_S8_PT0_lSA_lT1_lS8_lS8_.num_vgpr, 44
	.set _ZN9rocsolver6v33100L11lasr_kernelI19rocblas_complex_numIfEfPS3_iEEv13rocblas_side_14rocblas_pivot_15rocblas_direct_T2_S8_PT0_lSA_lT1_lS8_lS8_.num_agpr, 0
	.set _ZN9rocsolver6v33100L11lasr_kernelI19rocblas_complex_numIfEfPS3_iEEv13rocblas_side_14rocblas_pivot_15rocblas_direct_T2_S8_PT0_lSA_lT1_lS8_lS8_.numbered_sgpr, 91
	.set _ZN9rocsolver6v33100L11lasr_kernelI19rocblas_complex_numIfEfPS3_iEEv13rocblas_side_14rocblas_pivot_15rocblas_direct_T2_S8_PT0_lSA_lT1_lS8_lS8_.num_named_barrier, 0
	.set _ZN9rocsolver6v33100L11lasr_kernelI19rocblas_complex_numIfEfPS3_iEEv13rocblas_side_14rocblas_pivot_15rocblas_direct_T2_S8_PT0_lSA_lT1_lS8_lS8_.private_seg_size, 0
	.set _ZN9rocsolver6v33100L11lasr_kernelI19rocblas_complex_numIfEfPS3_iEEv13rocblas_side_14rocblas_pivot_15rocblas_direct_T2_S8_PT0_lSA_lT1_lS8_lS8_.uses_vcc, 1
	.set _ZN9rocsolver6v33100L11lasr_kernelI19rocblas_complex_numIfEfPS3_iEEv13rocblas_side_14rocblas_pivot_15rocblas_direct_T2_S8_PT0_lSA_lT1_lS8_lS8_.uses_flat_scratch, 0
	.set _ZN9rocsolver6v33100L11lasr_kernelI19rocblas_complex_numIfEfPS3_iEEv13rocblas_side_14rocblas_pivot_15rocblas_direct_T2_S8_PT0_lSA_lT1_lS8_lS8_.has_dyn_sized_stack, 0
	.set _ZN9rocsolver6v33100L11lasr_kernelI19rocblas_complex_numIfEfPS3_iEEv13rocblas_side_14rocblas_pivot_15rocblas_direct_T2_S8_PT0_lSA_lT1_lS8_lS8_.has_recursion, 0
	.set _ZN9rocsolver6v33100L11lasr_kernelI19rocblas_complex_numIfEfPS3_iEEv13rocblas_side_14rocblas_pivot_15rocblas_direct_T2_S8_PT0_lSA_lT1_lS8_lS8_.has_indirect_call, 0
	.section	.AMDGPU.csdata,"",@progbits
; Kernel info:
; codeLenInByte = 4292
; TotalNumSgprs: 93
; NumVgprs: 44
; ScratchSize: 0
; MemoryBound: 0
; FloatMode: 240
; IeeeMode: 1
; LDSByteSize: 0 bytes/workgroup (compile time only)
; SGPRBlocks: 0
; VGPRBlocks: 2
; NumSGPRsForWavesPerEU: 93
; NumVGPRsForWavesPerEU: 44
; NamedBarCnt: 0
; Occupancy: 16
; WaveLimiterHint : 0
; COMPUTE_PGM_RSRC2:SCRATCH_EN: 0
; COMPUTE_PGM_RSRC2:USER_SGPR: 2
; COMPUTE_PGM_RSRC2:TRAP_HANDLER: 0
; COMPUTE_PGM_RSRC2:TGID_X_EN: 1
; COMPUTE_PGM_RSRC2:TGID_Y_EN: 0
; COMPUTE_PGM_RSRC2:TGID_Z_EN: 1
; COMPUTE_PGM_RSRC2:TIDIG_COMP_CNT: 0
	.section	.text._ZN9rocsolver6v33100L11lasr_kernelI19rocblas_complex_numIdEdPS3_iEEv13rocblas_side_14rocblas_pivot_15rocblas_direct_T2_S8_PT0_lSA_lT1_lS8_lS8_,"axG",@progbits,_ZN9rocsolver6v33100L11lasr_kernelI19rocblas_complex_numIdEdPS3_iEEv13rocblas_side_14rocblas_pivot_15rocblas_direct_T2_S8_PT0_lSA_lT1_lS8_lS8_,comdat
	.globl	_ZN9rocsolver6v33100L11lasr_kernelI19rocblas_complex_numIdEdPS3_iEEv13rocblas_side_14rocblas_pivot_15rocblas_direct_T2_S8_PT0_lSA_lT1_lS8_lS8_ ; -- Begin function _ZN9rocsolver6v33100L11lasr_kernelI19rocblas_complex_numIdEdPS3_iEEv13rocblas_side_14rocblas_pivot_15rocblas_direct_T2_S8_PT0_lSA_lT1_lS8_lS8_
	.p2align	8
	.type	_ZN9rocsolver6v33100L11lasr_kernelI19rocblas_complex_numIdEdPS3_iEEv13rocblas_side_14rocblas_pivot_15rocblas_direct_T2_S8_PT0_lSA_lT1_lS8_lS8_,@function
_ZN9rocsolver6v33100L11lasr_kernelI19rocblas_complex_numIdEdPS3_iEEv13rocblas_side_14rocblas_pivot_15rocblas_direct_T2_S8_PT0_lSA_lT1_lS8_lS8_: ; @_ZN9rocsolver6v33100L11lasr_kernelI19rocblas_complex_numIdEdPS3_iEEv13rocblas_side_14rocblas_pivot_15rocblas_direct_T2_S8_PT0_lSA_lT1_lS8_lS8_
; %bb.0:
	s_load_b32 s33, s[0:1], 0x58
	s_bfe_u32 s2, ttmp6, 0x40014
	s_lshr_b32 s3, ttmp7, 16
	s_add_co_i32 s2, s2, 1
	s_bfe_u32 s5, ttmp6, 0x40008
	s_mul_i32 s2, s3, s2
	s_getreg_b32 s4, hwreg(HW_REG_IB_STS2, 6, 4)
	s_add_co_i32 s5, s5, s2
	s_cmp_eq_u32 s4, 0
	s_cselect_b32 s2, s3, s5
	s_mov_b32 s3, 0
	s_wait_kmcnt 0x0
	s_cmp_ge_u32 s2, s33
	s_cbranch_scc1 .LBB3_108
; %bb.1:
	s_clause 0x3
	s_load_b32 s20, s[0:1], 0x48
	s_load_b64 s[22:23], s[0:1], 0x68
	s_load_b128 s[16:19], s[0:1], 0x38
	s_load_b128 s[12:15], s[0:1], 0x0
	s_bfe_u32 s5, ttmp6, 0x4000c
	s_and_b32 s6, ttmp6, 15
	s_add_co_i32 s5, s5, 1
	s_load_b32 s24, s[0:1], 0x60
	s_mul_i32 s5, ttmp9, s5
	s_mov_b32 s51, s3
	s_add_co_i32 s6, s6, s5
	s_wait_kmcnt 0x0
	s_ashr_i32 s21, s20, 31
	s_and_b32 s25, s23, 0xffff
	s_cmp_eq_u32 s4, 0
	s_load_b32 s23, s[0:1], 0x10
	s_cselect_b32 s26, ttmp9, s6
	s_lshl_b64 s[48:49], s[18:19], 4
	v_mad_u32 v4, s26, s25, v0
	s_cmp_eq_u32 s12, 0x8d
	s_load_b64 s[18:19], s[0:1], 0x50
	s_cselect_b32 s27, -1, 0
	s_cmp_eq_u32 s12, 0x8e
	s_load_b256 s[4:11], s[0:1], 0x18
	s_cselect_b32 s28, -1, 0
	s_cmp_eq_u32 s13, 0x119
	s_mul_i32 s12, s24, s25
	s_cselect_b32 s29, -1, 0
	s_cmp_eq_u32 s13, 0x11b
	v_ashrrev_i32_e32 v5, 31, v4
	s_wait_xcnt 0x0
	s_cselect_b32 s0, -1, 0
	s_cmp_eq_u32 s13, 0x11a
	s_add_nc_u64 s[24:25], s[16:17], s[48:49]
	s_cselect_b32 s1, -1, 0
	s_cmp_eq_u32 s14, 0xab
	v_mul_u64_e32 v[2:3], s[20:21], v[4:5]
	s_cselect_b32 s13, -1, 0
	s_cmp_eq_u32 s14, 0xac
	v_lshlrev_b64_e32 v[0:1], 4, v[4:5]
	s_cselect_b32 s26, -1, 0
	s_and_b32 s14, s27, s29
	s_and_b32 s30, s27, s1
	;; [unrolled: 1-line block ×5, first 2 shown]
	s_xor_b32 s14, s31, -1
	s_and_b32 s31, s27, s13
	s_and_b32 s29, s28, s29
	s_and_b32 s27, s27, s26
	s_and_b32 s35, s30, s13
	s_xor_b32 s80, s27, -1
	s_and_b32 s27, s29, s26
	s_and_b32 s30, s30, s26
	s_xor_b32 s82, s27, -1
	s_and_b32 s27, s28, s0
	v_cmp_gt_i32_e64 s0, s15, v4
	s_and_b32 s1, s28, s1
	s_xor_b32 s78, s30, -1
	s_and_b32 s30, s29, s13
	s_and_b32 s29, s1, s13
	;; [unrolled: 1-line block ×4, first 2 shown]
	s_xor_b32 s84, s1, -1
	s_and_b32 s1, s26, s0
	s_wait_kmcnt 0x0
	s_add_co_i32 s26, s23, -1
	s_xor_b32 s76, s34, -1
	s_xor_b32 s77, s35, -1
	;; [unrolled: 1-line block ×6, first 2 shown]
	s_and_b32 s86, s27, s1
	s_ashr_i32 s27, s26, 31
	s_add_co_i32 s34, s23, -2
	s_cmp_gt_i32 s23, 1
	s_mul_u64 s[28:29], s[20:21], s[26:27]
	s_mov_b32 s27, s3
	s_cselect_b32 s87, -1, 0
	s_ashr_i32 s31, s15, 31
	s_add_co_i32 s50, s15, -2
	s_cmp_gt_i32 s15, 1
	s_mul_u64 s[40:41], s[20:21], s[26:27]
	s_mov_b32 s35, s3
	s_cselect_b32 s88, -1, 0
	s_lshl_b64 s[40:41], s[40:41], 4
	s_mul_u64 s[36:37], s[20:21], s[34:35]
	s_add_nc_u64 s[40:41], s[40:41], s[48:49]
	s_lshl_b64 s[36:37], s[36:37], 4
	s_add_nc_u64 s[42:43], s[16:17], s[40:41]
	s_lshl_b64 s[40:41], s[20:21], 4
	s_add_nc_u64 s[36:37], s[36:37], s[48:49]
	s_add_nc_u64 s[46:47], s[48:49], s[40:41]
	;; [unrolled: 1-line block ×4, first 2 shown]
	v_lshl_add_u64 v[2:3], v[2:3], 4, s[48:49]
	v_add_nc_u64_e32 v[6:7], s[36:37], v[0:1]
	v_add_nc_u64_e32 v[10:11], s[24:25], v[0:1]
	;; [unrolled: 1-line block ×4, first 2 shown]
	s_add_co_i32 s46, s15, -1
	s_lshl_b64 s[48:49], s[50:51], 4
	s_mov_b32 s47, s3
	s_add_nc_u64 s[48:49], s[16:17], s[48:49]
	s_lshl_b64 s[52:53], s[46:47], 4
	v_add_nc_u64_e32 v[14:15], s[48:49], v[2:3]
	s_add_nc_u64 s[48:49], s[16:17], s[52:53]
	v_add_nc_u64_e32 v[26:27], s[16:17], v[2:3]
	v_add_nc_u64_e32 v[2:3], s[48:49], v[2:3]
	;; [unrolled: 1-line block ×11, first 2 shown]
	s_ashr_i32 s13, s12, 31
	v_cmp_gt_i32_e64 s1, s23, v4
	v_mov_b32_e32 v5, 0
	s_lshl_b64 s[38:39], s[34:35], 3
	s_lshl_b64 s[48:49], s[50:51], 3
	s_mul_u64 s[50:51], s[20:21], s[12:13]
	s_mov_b32 s30, s15
	s_add_nc_u64 s[34:35], s[4:5], s[38:39]
	s_lshl_b64 s[6:7], s[6:7], 3
	s_add_nc_u64 s[36:37], s[8:9], s[38:39]
	s_lshl_b64 s[10:11], s[10:11], 3
	s_lshl_b64 s[38:39], s[18:19], 4
	;; [unrolled: 1-line block ×3, first 2 shown]
	s_sub_nc_u64 s[44:45], 0, s[40:41]
	s_add_co_i32 s27, s23, 1
	s_add_nc_u64 s[16:17], s[4:5], s[48:49]
	s_add_nc_u64 s[48:49], s[8:9], s[48:49]
	s_lshl_b64 s[50:51], s[50:51], 4
	s_add_co_i32 s13, s15, 1
	s_branch .LBB3_4
.LBB3_2:                                ;   in Loop: Header=BB3_4 Depth=1
	s_or_b32 exec_lo, exec_lo, s47
.LBB3_3:                                ;   in Loop: Header=BB3_4 Depth=1
	s_add_co_i32 s2, s2, s22
	s_delay_alu instid0(SALU_CYCLE_1)
	s_cmp_ge_u32 s2, s33
	s_cbranch_scc1 .LBB3_108
.LBB3_4:                                ; =>This Loop Header: Depth=1
                                        ;     Child Loop BB3_19 Depth 2
                                        ;       Child Loop BB3_20 Depth 3
                                        ;     Child Loop BB3_26 Depth 2
                                        ;       Child Loop BB3_27 Depth 3
	;; [unrolled: 2-line block ×12, first 2 shown]
	s_mul_u64 s[56:57], s[18:19], s[2:3]
	s_mul_u64 s[66:67], s[10:11], s[2:3]
	;; [unrolled: 1-line block ×3, first 2 shown]
	s_lshl_b64 s[56:57], s[56:57], 4
	s_add_nc_u64 s[52:53], s[8:9], s[66:67]
	s_add_nc_u64 s[54:55], s[4:5], s[64:65]
	s_mul_u64 s[58:59], s[38:39], s[2:3]
	s_add_nc_u64 s[56:57], s[24:25], s[56:57]
	s_and_b32 vcc_lo, exec_lo, s14
	s_mov_b32 s47, -1
	s_cbranch_vccnz .LBB3_6
; %bb.5:                                ;   in Loop: Header=BB3_4 Depth=1
	s_and_not1_b32 vcc_lo, exec_lo, s47
	s_cbranch_vccnz .LBB3_3
	s_branch .LBB3_103
.LBB3_6:                                ;   in Loop: Header=BB3_4 Depth=1
	s_add_nc_u64 s[60:61], s[16:17], s[64:65]
	s_add_nc_u64 s[62:63], s[48:49], s[66:67]
	s_and_b32 vcc_lo, exec_lo, s76
	s_cbranch_vccz .LBB3_95
; %bb.7:                                ;   in Loop: Header=BB3_4 Depth=1
	s_and_b32 vcc_lo, exec_lo, s77
	s_cbranch_vccz .LBB3_87
; %bb.8:                                ;   in Loop: Header=BB3_4 Depth=1
	s_and_b32 vcc_lo, exec_lo, s78
	s_cbranch_vccz .LBB3_79
; %bb.9:                                ;   in Loop: Header=BB3_4 Depth=1
	s_and_b32 vcc_lo, exec_lo, s79
	s_cbranch_vccz .LBB3_71
; %bb.10:                               ;   in Loop: Header=BB3_4 Depth=1
	s_and_b32 vcc_lo, exec_lo, s80
	s_cbranch_vccz .LBB3_63
; %bb.11:                               ;   in Loop: Header=BB3_4 Depth=1
	v_add_nc_u64_e32 v[28:29], s[58:59], v[10:11]
	s_and_b32 vcc_lo, exec_lo, s81
	s_cbranch_vccz .LBB3_55
; %bb.12:                               ;   in Loop: Header=BB3_4 Depth=1
	v_add_nc_u64_e32 v[30:31], s[58:59], v[12:13]
	s_add_nc_u64 s[64:65], s[34:35], s[64:65]
	s_add_nc_u64 s[66:67], s[36:37], s[66:67]
	s_and_b32 vcc_lo, exec_lo, s82
	s_cbranch_vccz .LBB3_46
; %bb.13:                               ;   in Loop: Header=BB3_4 Depth=1
	s_and_b32 vcc_lo, exec_lo, s83
	s_cbranch_vccz .LBB3_38
; %bb.14:                               ;   in Loop: Header=BB3_4 Depth=1
	;; [unrolled: 3-line block ×4, first 2 shown]
	s_and_saveexec_b32 s47, s86
	s_cbranch_execz .LBB3_21
; %bb.17:                               ;   in Loop: Header=BB3_4 Depth=1
	v_add_nc_u64_e32 v[32:33], s[58:59], v[8:9]
	v_mov_b32_e32 v34, v4
	s_lshl_b64 s[68:69], s[28:29], 4
	s_mov_b32 s74, 0
	s_add_nc_u64 s[68:69], s[56:57], s[68:69]
	s_branch .LBB3_19
.LBB3_18:                               ;   in Loop: Header=BB3_19 Depth=2
	v_ashrrev_i32_e32 v35, 31, v34
	v_add_nc_u64_e32 v[32:33], s[42:43], v[32:33]
	s_delay_alu instid0(VALU_DEP_2)
	v_lshl_add_u64 v[36:37], v[34:35], 4, s[68:69]
	s_wait_xcnt 0x0
	v_add_nc_u32_e32 v34, s12, v34
	s_wait_loadcnt 0x0
	global_store_b128 v[36:37], v[0:3], off
	v_cmp_le_i32_e32 vcc_lo, s15, v34
	s_or_b32 s74, vcc_lo, s74
	s_wait_xcnt 0x0
	s_and_not1_b32 exec_lo, exec_lo, s74
	s_cbranch_execz .LBB3_21
.LBB3_19:                               ;   Parent Loop BB3_4 Depth=1
                                        ; =>  This Loop Header: Depth=2
                                        ;       Child Loop BB3_20 Depth 3
	global_load_b128 v[0:3], v34, s[68:69] scale_offset
	v_mov_b64_e32 v[36:37], v[32:33]
	s_and_not1_b32 vcc_lo, exec_lo, s87
	s_mov_b64 s[70:71], s[66:67]
	s_mov_b64 s[72:73], s[64:65]
	s_mov_b32 s75, s26
	s_cbranch_vccnz .LBB3_18
.LBB3_20:                               ;   Parent Loop BB3_4 Depth=1
                                        ;     Parent Loop BB3_19 Depth=2
                                        ; =>    This Inner Loop Header: Depth=3
	global_load_b128 v[38:41], v[36:37], off offset:-8
	s_clause 0x1
	global_load_b64 v[46:47], v5, s[72:73]
	global_load_b64 v[48:49], v5, s[70:71]
	s_add_co_i32 s75, s75, -1
	s_wait_xcnt 0x1
	s_add_nc_u64 s[72:73], s[72:73], -8
	s_cmp_eq_u32 s75, 0
	s_wait_xcnt 0x0
	s_add_nc_u64 s[70:71], s[70:71], -8
	s_wait_loadcnt 0x1
	v_mul_f64_e32 v[42:43], v[46:47], v[38:39]
	v_mul_f64_e32 v[44:45], v[46:47], v[40:41]
	s_wait_loadcnt 0x0
	v_mul_f64_e32 v[38:39], v[48:49], v[38:39]
	v_mul_f64_e32 v[40:41], v[48:49], v[40:41]
	s_delay_alu instid0(VALU_DEP_4) | instskip(NEXT) | instid1(VALU_DEP_4)
	v_fmac_f64_e32 v[42:43], v[0:1], v[48:49]
	v_fmac_f64_e32 v[44:45], v[2:3], v[48:49]
	s_delay_alu instid0(VALU_DEP_4) | instskip(NEXT) | instid1(VALU_DEP_4)
	v_fma_f64 v[0:1], v[0:1], v[46:47], -v[38:39]
	v_fma_f64 v[2:3], v[2:3], v[46:47], -v[40:41]
	global_store_b128 v[36:37], v[42:45], off offset:-8
	s_wait_xcnt 0x0
	v_add_nc_u64_e32 v[36:37], s[44:45], v[36:37]
	s_cbranch_scc0 .LBB3_20
	s_branch .LBB3_18
.LBB3_21:                               ;   in Loop: Header=BB3_4 Depth=1
	s_or_b32 exec_lo, exec_lo, s47
	s_mov_b32 s47, 0
.LBB3_22:                               ;   in Loop: Header=BB3_4 Depth=1
	s_delay_alu instid0(SALU_CYCLE_1)
	s_and_not1_b32 vcc_lo, exec_lo, s47
	s_cbranch_vccnz .LBB3_29
; %bb.23:                               ;   in Loop: Header=BB3_4 Depth=1
	s_and_saveexec_b32 s47, s0
	s_cbranch_execz .LBB3_28
; %bb.24:                               ;   in Loop: Header=BB3_4 Depth=1
	v_mov_b64_e32 v[32:33], v[28:29]
	v_mov_b32_e32 v34, v4
	s_lshl_b64 s[68:69], s[28:29], 4
	s_mov_b32 s74, 0
	s_add_nc_u64 s[68:69], s[56:57], s[68:69]
	s_branch .LBB3_26
.LBB3_25:                               ;   in Loop: Header=BB3_26 Depth=2
	v_ashrrev_i32_e32 v35, 31, v34
	v_add_nc_u64_e32 v[32:33], s[42:43], v[32:33]
	s_delay_alu instid0(VALU_DEP_2)
	v_lshl_add_u64 v[36:37], v[34:35], 4, s[68:69]
	s_wait_xcnt 0x0
	v_add_nc_u32_e32 v34, s12, v34
	s_wait_loadcnt 0x0
	global_store_b128 v[36:37], v[0:3], off
	v_cmp_le_i32_e32 vcc_lo, s15, v34
	s_or_b32 s74, vcc_lo, s74
	s_wait_xcnt 0x0
	s_and_not1_b32 exec_lo, exec_lo, s74
	s_cbranch_execz .LBB3_28
.LBB3_26:                               ;   Parent Loop BB3_4 Depth=1
                                        ; =>  This Loop Header: Depth=2
                                        ;       Child Loop BB3_27 Depth 3
	global_load_b128 v[0:3], v34, s[68:69] scale_offset
	v_mov_b64_e32 v[36:37], v[32:33]
	s_and_not1_b32 vcc_lo, exec_lo, s87
	s_mov_b64 s[70:71], s[52:53]
	s_mov_b64 s[72:73], s[54:55]
	s_mov_b32 s75, s26
	s_cbranch_vccnz .LBB3_25
.LBB3_27:                               ;   Parent Loop BB3_4 Depth=1
                                        ;     Parent Loop BB3_26 Depth=2
                                        ; =>    This Inner Loop Header: Depth=3
	global_load_b128 v[38:41], v[36:37], off offset:-8
	s_clause 0x1
	global_load_b64 v[46:47], v5, s[72:73]
	global_load_b64 v[48:49], v5, s[70:71]
	s_add_co_i32 s75, s75, -1
	s_wait_xcnt 0x1
	s_add_nc_u64 s[72:73], s[72:73], 8
	s_cmp_eq_u32 s75, 0
	s_wait_xcnt 0x0
	s_add_nc_u64 s[70:71], s[70:71], 8
	s_wait_loadcnt 0x1
	v_mul_f64_e32 v[42:43], v[46:47], v[38:39]
	v_mul_f64_e32 v[44:45], v[46:47], v[40:41]
	s_wait_loadcnt 0x0
	v_mul_f64_e32 v[38:39], v[48:49], v[38:39]
	v_mul_f64_e32 v[40:41], v[48:49], v[40:41]
	s_delay_alu instid0(VALU_DEP_4) | instskip(NEXT) | instid1(VALU_DEP_4)
	v_fmac_f64_e32 v[42:43], v[0:1], v[48:49]
	v_fmac_f64_e32 v[44:45], v[2:3], v[48:49]
	s_delay_alu instid0(VALU_DEP_4) | instskip(NEXT) | instid1(VALU_DEP_4)
	v_fma_f64 v[0:1], v[0:1], v[46:47], -v[38:39]
	v_fma_f64 v[2:3], v[2:3], v[46:47], -v[40:41]
	global_store_b128 v[36:37], v[42:45], off offset:-8
	s_wait_xcnt 0x0
	v_add_nc_u64_e32 v[36:37], s[40:41], v[36:37]
	s_cbranch_scc0 .LBB3_27
	s_branch .LBB3_25
.LBB3_28:                               ;   in Loop: Header=BB3_4 Depth=1
	s_or_b32 exec_lo, exec_lo, s47
.LBB3_29:                               ;   in Loop: Header=BB3_4 Depth=1
	s_mov_b32 s47, 0
.LBB3_30:                               ;   in Loop: Header=BB3_4 Depth=1
	s_delay_alu instid0(SALU_CYCLE_1)
	s_and_not1_b32 vcc_lo, exec_lo, s47
	s_cbranch_vccnz .LBB3_37
; %bb.31:                               ;   in Loop: Header=BB3_4 Depth=1
	s_and_saveexec_b32 s47, s0
	s_cbranch_execz .LBB3_36
; %bb.32:                               ;   in Loop: Header=BB3_4 Depth=1
	v_mov_b64_e32 v[32:33], v[30:31]
	v_mov_b32_e32 v34, v4
	s_mov_b32 s72, 0
	s_branch .LBB3_34
.LBB3_33:                               ;   in Loop: Header=BB3_34 Depth=2
	v_ashrrev_i32_e32 v35, 31, v34
	v_add_nc_u64_e32 v[32:33], s[42:43], v[32:33]
	s_delay_alu instid0(VALU_DEP_2)
	v_lshl_add_u64 v[36:37], v[34:35], 4, s[56:57]
	s_wait_xcnt 0x0
	v_add_nc_u32_e32 v34, s12, v34
	s_wait_loadcnt 0x0
	global_store_b128 v[36:37], v[0:3], off
	v_cmp_le_i32_e32 vcc_lo, s15, v34
	s_or_b32 s72, vcc_lo, s72
	s_wait_xcnt 0x0
	s_and_not1_b32 exec_lo, exec_lo, s72
	s_cbranch_execz .LBB3_36
.LBB3_34:                               ;   Parent Loop BB3_4 Depth=1
                                        ; =>  This Loop Header: Depth=2
                                        ;       Child Loop BB3_35 Depth 3
	global_load_b128 v[0:3], v34, s[56:57] scale_offset
	v_mov_b64_e32 v[36:37], v[32:33]
	s_and_not1_b32 vcc_lo, exec_lo, s87
	s_mov_b64 s[68:69], s[66:67]
	s_mov_b64 s[70:71], s[64:65]
	s_mov_b32 s73, s27
	s_cbranch_vccnz .LBB3_33
.LBB3_35:                               ;   Parent Loop BB3_4 Depth=1
                                        ;     Parent Loop BB3_34 Depth=2
                                        ; =>    This Inner Loop Header: Depth=3
	s_clause 0x1
	global_load_b64 v[42:43], v5, s[68:69]
	global_load_b64 v[44:45], v5, s[70:71]
	global_load_b128 v[38:41], v[36:37], off offset:-8
	s_wait_loadcnt 0x3
	v_mov_b64_e32 v[46:47], v[0:1]
	v_mov_b64_e32 v[48:49], v[2:3]
	s_add_co_i32 s73, s73, -1
	s_wait_xcnt 0x1
	s_add_nc_u64 s[70:71], s[70:71], -8
	s_cmp_lt_u32 s73, 3
	s_add_nc_u64 s[68:69], s[68:69], -8
	s_wait_loadcnt 0x2
	v_mul_f64_e32 v[50:51], v[46:47], v[42:43]
	v_mul_f64_e32 v[52:53], v[48:49], v[42:43]
	s_wait_loadcnt 0x0
	v_mul_f64_e32 v[0:1], v[42:43], v[38:39]
	v_mul_f64_e32 v[2:3], v[42:43], v[40:41]
	s_delay_alu instid0(VALU_DEP_4) | instskip(NEXT) | instid1(VALU_DEP_4)
	v_fma_f64 v[38:39], v[44:45], v[38:39], -v[50:51]
	v_fma_f64 v[40:41], v[44:45], v[40:41], -v[52:53]
	s_delay_alu instid0(VALU_DEP_4) | instskip(NEXT) | instid1(VALU_DEP_4)
	v_fmac_f64_e32 v[0:1], v[46:47], v[44:45]
	v_fmac_f64_e32 v[2:3], v[48:49], v[44:45]
	global_store_b128 v[36:37], v[38:41], off offset:-8
	s_wait_xcnt 0x0
	v_add_nc_u64_e32 v[36:37], s[44:45], v[36:37]
	s_cbranch_scc0 .LBB3_35
	s_branch .LBB3_33
.LBB3_36:                               ;   in Loop: Header=BB3_4 Depth=1
	s_or_b32 exec_lo, exec_lo, s47
.LBB3_37:                               ;   in Loop: Header=BB3_4 Depth=1
	s_mov_b32 s47, 0
.LBB3_38:                               ;   in Loop: Header=BB3_4 Depth=1
	s_delay_alu instid0(SALU_CYCLE_1)
	s_and_not1_b32 vcc_lo, exec_lo, s47
	s_cbranch_vccnz .LBB3_45
; %bb.39:                               ;   in Loop: Header=BB3_4 Depth=1
	s_and_saveexec_b32 s47, s0
	s_cbranch_execz .LBB3_44
; %bb.40:                               ;   in Loop: Header=BB3_4 Depth=1
	v_add_nc_u64_e32 v[32:33], s[58:59], v[16:17]
	v_mov_b32_e32 v34, v4
	s_mov_b32 s72, 0
	s_branch .LBB3_42
.LBB3_41:                               ;   in Loop: Header=BB3_42 Depth=2
	v_ashrrev_i32_e32 v35, 31, v34
	v_add_nc_u64_e32 v[32:33], s[42:43], v[32:33]
	s_delay_alu instid0(VALU_DEP_2)
	v_lshl_add_u64 v[36:37], v[34:35], 4, s[56:57]
	s_wait_xcnt 0x0
	v_add_nc_u32_e32 v34, s12, v34
	s_wait_loadcnt 0x0
	global_store_b128 v[36:37], v[0:3], off
	v_cmp_le_i32_e32 vcc_lo, s15, v34
	s_or_b32 s72, vcc_lo, s72
	s_wait_xcnt 0x0
	s_and_not1_b32 exec_lo, exec_lo, s72
	s_cbranch_execz .LBB3_44
.LBB3_42:                               ;   Parent Loop BB3_4 Depth=1
                                        ; =>  This Loop Header: Depth=2
                                        ;       Child Loop BB3_43 Depth 3
	global_load_b128 v[0:3], v34, s[56:57] scale_offset
	v_mov_b64_e32 v[36:37], v[32:33]
	s_and_not1_b32 vcc_lo, exec_lo, s87
	s_mov_b32 s73, s26
	s_mov_b64 s[68:69], s[54:55]
	s_mov_b64 s[70:71], s[52:53]
	s_cbranch_vccnz .LBB3_41
.LBB3_43:                               ;   Parent Loop BB3_4 Depth=1
                                        ;     Parent Loop BB3_42 Depth=2
                                        ; =>    This Inner Loop Header: Depth=3
	s_clause 0x1
	global_load_b64 v[42:43], v5, s[70:71]
	global_load_b64 v[44:45], v5, s[68:69]
	global_load_b128 v[38:41], v[36:37], off offset:-8
	s_wait_loadcnt 0x3
	v_mov_b64_e32 v[46:47], v[0:1]
	v_mov_b64_e32 v[48:49], v[2:3]
	s_add_co_i32 s73, s73, -1
	s_wait_xcnt 0x2
	s_add_nc_u64 s[70:71], s[70:71], 8
	s_cmp_eq_u32 s73, 0
	s_wait_xcnt 0x1
	s_add_nc_u64 s[68:69], s[68:69], 8
	s_wait_loadcnt 0x2
	v_mul_f64_e32 v[50:51], v[46:47], v[42:43]
	v_mul_f64_e32 v[52:53], v[48:49], v[42:43]
	s_wait_loadcnt 0x0
	v_mul_f64_e32 v[0:1], v[42:43], v[38:39]
	v_mul_f64_e32 v[2:3], v[42:43], v[40:41]
	s_delay_alu instid0(VALU_DEP_4) | instskip(NEXT) | instid1(VALU_DEP_4)
	v_fma_f64 v[38:39], v[44:45], v[38:39], -v[50:51]
	v_fma_f64 v[40:41], v[44:45], v[40:41], -v[52:53]
	s_delay_alu instid0(VALU_DEP_4) | instskip(NEXT) | instid1(VALU_DEP_4)
	v_fmac_f64_e32 v[0:1], v[46:47], v[44:45]
	v_fmac_f64_e32 v[2:3], v[48:49], v[44:45]
	global_store_b128 v[36:37], v[38:41], off offset:-8
	s_wait_xcnt 0x0
	v_add_nc_u64_e32 v[36:37], s[40:41], v[36:37]
	s_cbranch_scc0 .LBB3_43
	s_branch .LBB3_41
.LBB3_44:                               ;   in Loop: Header=BB3_4 Depth=1
	s_or_b32 exec_lo, exec_lo, s47
.LBB3_45:                               ;   in Loop: Header=BB3_4 Depth=1
	s_mov_b32 s47, 0
.LBB3_46:                               ;   in Loop: Header=BB3_4 Depth=1
	s_delay_alu instid0(SALU_CYCLE_1)
	s_and_not1_b32 vcc_lo, exec_lo, s47
	s_cbranch_vccnz .LBB3_54
; %bb.47:                               ;   in Loop: Header=BB3_4 Depth=1
	s_and_saveexec_b32 s47, s0
	s_cbranch_execz .LBB3_53
; %bb.48:                               ;   in Loop: Header=BB3_4 Depth=1
	v_add_nc_u64_e32 v[32:33], s[58:59], v[6:7]
	v_mov_b32_e32 v34, v4
	s_lshl_b64 s[68:69], s[28:29], 4
	s_mov_b32 s89, 0
	s_add_nc_u64 s[68:69], s[56:57], s[68:69]
	s_branch .LBB3_50
.LBB3_49:                               ;   in Loop: Header=BB3_50 Depth=2
	v_ashrrev_i32_e32 v35, 31, v34
	v_add_nc_u64_e32 v[32:33], s[42:43], v[32:33]
	v_add_nc_u64_e32 v[30:31], s[42:43], v[30:31]
	s_wait_xcnt 0x0
	s_delay_alu instid0(VALU_DEP_3)
	v_lshl_add_u64 v[36:37], v[34:35], 4, s[56:57]
	v_add_nc_u32_e32 v34, s12, v34
	s_wait_loadcnt 0x0
	global_store_b128 v[36:37], v[0:3], off
	v_cmp_le_i32_e32 vcc_lo, s15, v34
	s_or_b32 s89, vcc_lo, s89
	s_wait_xcnt 0x0
	s_and_not1_b32 exec_lo, exec_lo, s89
	s_cbranch_execz .LBB3_53
.LBB3_50:                               ;   Parent Loop BB3_4 Depth=1
                                        ; =>  This Loop Header: Depth=2
                                        ;       Child Loop BB3_52 Depth 3
	global_load_b128 v[0:3], v34, s[68:69] scale_offset
	s_and_not1_b32 vcc_lo, exec_lo, s87
	s_cbranch_vccnz .LBB3_49
; %bb.51:                               ;   in Loop: Header=BB3_50 Depth=2
	s_mov_b64 s[70:71], 0
	s_mov_b64 s[72:73], s[66:67]
	;; [unrolled: 1-line block ×3, first 2 shown]
	s_mov_b32 s90, s26
.LBB3_52:                               ;   Parent Loop BB3_4 Depth=1
                                        ;     Parent Loop BB3_50 Depth=2
                                        ; =>    This Inner Loop Header: Depth=3
	s_wait_xcnt 0x0
	v_add_nc_u64_e32 v[36:37], s[70:71], v[32:33]
	s_wait_loadcnt 0x0
	v_mov_b64_e32 v[44:45], v[2:3]
	v_mov_b64_e32 v[46:47], v[0:1]
	s_add_co_i32 s90, s90, -1
	s_clause 0x1
	global_load_b64 v[40:41], v5, s[74:75]
	global_load_b64 v[42:43], v5, s[72:73]
	global_load_b128 v[36:39], v[36:37], off
	s_wait_xcnt 0x2
	s_add_nc_u64 s[74:75], s[74:75], -8
	s_cmp_eq_u32 s90, 0
	s_wait_xcnt 0x1
	s_add_nc_u64 s[72:73], s[72:73], -8
	s_wait_loadcnt 0x0
	v_mul_f64_e32 v[48:49], v[42:43], v[36:37]
	v_mul_f64_e32 v[50:51], v[42:43], v[38:39]
	;; [unrolled: 1-line block ×4, first 2 shown]
	s_wait_xcnt 0x0
	s_delay_alu instid0(VALU_DEP_4) | instskip(NEXT) | instid1(VALU_DEP_4)
	v_fma_f64 v[36:37], v[46:47], v[40:41], -v[48:49]
	v_fma_f64 v[38:39], v[44:45], v[40:41], -v[50:51]
	s_delay_alu instid0(VALU_DEP_4) | instskip(NEXT) | instid1(VALU_DEP_4)
	v_fmac_f64_e32 v[0:1], v[46:47], v[42:43]
	v_fmac_f64_e32 v[2:3], v[44:45], v[42:43]
	v_add_nc_u64_e32 v[40:41], s[70:71], v[30:31]
	s_sub_nc_u64 s[70:71], s[70:71], s[40:41]
	global_store_b128 v[40:41], v[36:39], off offset:-8
	s_cbranch_scc0 .LBB3_52
	s_branch .LBB3_49
.LBB3_53:                               ;   in Loop: Header=BB3_4 Depth=1
	s_or_b32 exec_lo, exec_lo, s47
.LBB3_54:                               ;   in Loop: Header=BB3_4 Depth=1
	s_mov_b32 s47, 0
.LBB3_55:                               ;   in Loop: Header=BB3_4 Depth=1
	s_delay_alu instid0(SALU_CYCLE_1)
	s_and_not1_b32 vcc_lo, exec_lo, s47
	s_cbranch_vccnz .LBB3_62
; %bb.56:                               ;   in Loop: Header=BB3_4 Depth=1
	s_and_saveexec_b32 s47, s0
	s_cbranch_execz .LBB3_61
; %bb.57:                               ;   in Loop: Header=BB3_4 Depth=1
	v_mov_b32_e32 v30, v4
	s_lshl_b64 s[64:65], s[28:29], 4
	s_mov_b32 s70, 0
	s_add_nc_u64 s[64:65], s[56:57], s[64:65]
	s_branch .LBB3_59
.LBB3_58:                               ;   in Loop: Header=BB3_59 Depth=2
	v_ashrrev_i32_e32 v31, 31, v30
	v_add_nc_u64_e32 v[28:29], s[42:43], v[28:29]
	s_delay_alu instid0(VALU_DEP_2)
	v_lshl_add_u64 v[32:33], v[30:31], 4, s[64:65]
	s_wait_xcnt 0x0
	v_add_nc_u32_e32 v30, s12, v30
	s_wait_loadcnt 0x0
	global_store_b128 v[32:33], v[0:3], off
	v_cmp_le_i32_e32 vcc_lo, s15, v30
	s_or_b32 s70, vcc_lo, s70
	s_wait_xcnt 0x0
	s_and_not1_b32 exec_lo, exec_lo, s70
	s_cbranch_execz .LBB3_61
.LBB3_59:                               ;   Parent Loop BB3_4 Depth=1
                                        ; =>  This Loop Header: Depth=2
                                        ;       Child Loop BB3_60 Depth 3
	global_load_b128 v[0:3], v30, s[56:57] scale_offset
	v_mov_b64_e32 v[32:33], v[28:29]
	s_and_not1_b32 vcc_lo, exec_lo, s87
	s_mov_b64 s[66:67], s[52:53]
	s_mov_b64 s[68:69], s[54:55]
	s_mov_b32 s71, s26
	s_cbranch_vccnz .LBB3_58
.LBB3_60:                               ;   Parent Loop BB3_4 Depth=1
                                        ;     Parent Loop BB3_59 Depth=2
                                        ; =>    This Inner Loop Header: Depth=3
	s_delay_alu instid0(VALU_DEP_1)
	v_add_nc_u64_e32 v[42:43], s[40:41], v[32:33]
	s_add_co_i32 s71, s71, -1
	global_load_b128 v[34:37], v[42:43], off offset:-8
	s_clause 0x1
	global_load_b64 v[44:45], v5, s[66:67]
	global_load_b64 v[46:47], v5, s[68:69]
	s_wait_xcnt 0x0
	s_add_nc_u64 s[68:69], s[68:69], 8
	s_cmp_eq_u32 s71, 0
	s_add_nc_u64 s[66:67], s[66:67], 8
	s_wait_loadcnt 0x1
	v_mul_f64_e32 v[38:39], v[44:45], v[34:35]
	v_mul_f64_e32 v[40:41], v[44:45], v[36:37]
	;; [unrolled: 1-line block ×4, first 2 shown]
	s_wait_loadcnt 0x0
	s_delay_alu instid0(VALU_DEP_4) | instskip(NEXT) | instid1(VALU_DEP_4)
	v_fmac_f64_e32 v[38:39], v[0:1], v[46:47]
	v_fmac_f64_e32 v[40:41], v[2:3], v[46:47]
	s_delay_alu instid0(VALU_DEP_4) | instskip(NEXT) | instid1(VALU_DEP_4)
	v_fma_f64 v[0:1], v[46:47], v[34:35], -v[48:49]
	v_fma_f64 v[2:3], v[46:47], v[36:37], -v[44:45]
	global_store_b128 v[32:33], v[38:41], off offset:-8
	s_wait_xcnt 0x0
	v_mov_b64_e32 v[32:33], v[42:43]
	s_cbranch_scc0 .LBB3_60
	s_branch .LBB3_58
.LBB3_61:                               ;   in Loop: Header=BB3_4 Depth=1
	s_or_b32 exec_lo, exec_lo, s47
.LBB3_62:                               ;   in Loop: Header=BB3_4 Depth=1
	s_mov_b32 s47, 0
.LBB3_63:                               ;   in Loop: Header=BB3_4 Depth=1
	s_delay_alu instid0(SALU_CYCLE_1)
	s_and_not1_b32 vcc_lo, exec_lo, s47
	s_cbranch_vccnz .LBB3_70
; %bb.64:                               ;   in Loop: Header=BB3_4 Depth=1
	s_and_saveexec_b32 s47, s1
	s_cbranch_execz .LBB3_69
; %bb.65:                               ;   in Loop: Header=BB3_4 Depth=1
	v_add_nc_u64_e32 v[28:29], s[58:59], v[18:19]
	v_mov_b32_e32 v30, v4
	s_lshl_b64 s[64:65], s[30:31], 4
	s_mov_b32 s70, 0
	s_add_nc_u64 s[64:65], s[56:57], s[64:65]
	s_branch .LBB3_67
.LBB3_66:                               ;   in Loop: Header=BB3_67 Depth=2
	v_add_nc_u32_e32 v30, s12, v30
	v_add_nc_u64_e32 v[28:29], s[50:51], v[28:29]
	s_wait_loadcnt 0x0
	global_store_b128 v[32:33], v[0:3], off offset:-16
	v_cmp_le_i32_e32 vcc_lo, s23, v30
	s_or_b32 s70, vcc_lo, s70
	s_wait_xcnt 0x0
	s_and_not1_b32 exec_lo, exec_lo, s70
	s_cbranch_execz .LBB3_69
.LBB3_67:                               ;   Parent Loop BB3_4 Depth=1
                                        ; =>  This Loop Header: Depth=2
                                        ;       Child Loop BB3_68 Depth 3
	v_ashrrev_i32_e32 v31, 31, v30
	v_mov_b64_e32 v[34:35], v[28:29]
	s_and_not1_b32 vcc_lo, exec_lo, s88
	s_mov_b64 s[66:67], s[62:63]
	s_mov_b64 s[68:69], s[60:61]
	v_mul_u64_e32 v[0:1], s[20:21], v[30:31]
	s_mov_b32 s71, s46
	s_delay_alu instid0(VALU_DEP_1)
	v_lshl_add_u64 v[32:33], v[0:1], 4, s[64:65]
	global_load_b128 v[0:3], v[32:33], off offset:-16
	s_cbranch_vccnz .LBB3_66
.LBB3_68:                               ;   Parent Loop BB3_4 Depth=1
                                        ;     Parent Loop BB3_67 Depth=2
                                        ; =>    This Inner Loop Header: Depth=3
	global_load_b128 v[36:39], v[34:35], off offset:-8
	s_clause 0x1
	global_load_b64 v[44:45], v5, s[68:69]
	global_load_b64 v[46:47], v5, s[66:67]
	s_add_co_i32 s71, s71, -1
	s_wait_xcnt 0x1
	s_add_nc_u64 s[68:69], s[68:69], -8
	s_cmp_eq_u32 s71, 0
	s_wait_xcnt 0x0
	s_add_nc_u64 s[66:67], s[66:67], -8
	s_wait_loadcnt 0x1
	v_mul_f64_e32 v[40:41], v[44:45], v[36:37]
	v_mul_f64_e32 v[42:43], v[44:45], v[38:39]
	s_wait_loadcnt 0x0
	v_mul_f64_e32 v[36:37], v[46:47], v[36:37]
	v_mul_f64_e32 v[38:39], v[46:47], v[38:39]
	s_delay_alu instid0(VALU_DEP_4) | instskip(NEXT) | instid1(VALU_DEP_4)
	v_fmac_f64_e32 v[40:41], v[0:1], v[46:47]
	v_fmac_f64_e32 v[42:43], v[2:3], v[46:47]
	s_delay_alu instid0(VALU_DEP_4) | instskip(NEXT) | instid1(VALU_DEP_4)
	v_fma_f64 v[0:1], v[0:1], v[44:45], -v[36:37]
	v_fma_f64 v[2:3], v[2:3], v[44:45], -v[38:39]
	global_store_b128 v[34:35], v[40:43], off offset:-8
	s_wait_xcnt 0x0
	v_add_nc_u64_e32 v[34:35], -16, v[34:35]
	s_cbranch_scc0 .LBB3_68
	s_branch .LBB3_66
.LBB3_69:                               ;   in Loop: Header=BB3_4 Depth=1
	s_or_b32 exec_lo, exec_lo, s47
.LBB3_70:                               ;   in Loop: Header=BB3_4 Depth=1
	s_mov_b32 s47, 0
.LBB3_71:                               ;   in Loop: Header=BB3_4 Depth=1
	s_delay_alu instid0(SALU_CYCLE_1)
	s_and_not1_b32 vcc_lo, exec_lo, s47
	s_cbranch_vccnz .LBB3_78
; %bb.72:                               ;   in Loop: Header=BB3_4 Depth=1
	s_and_saveexec_b32 s47, s1
	s_cbranch_execz .LBB3_77
; %bb.73:                               ;   in Loop: Header=BB3_4 Depth=1
	v_add_nc_u64_e32 v[28:29], s[58:59], v[20:21]
	v_mov_b32_e32 v30, v4
	s_lshl_b64 s[64:65], s[30:31], 4
	s_mov_b32 s70, 0
	s_add_nc_u64 s[64:65], s[56:57], s[64:65]
	s_branch .LBB3_75
.LBB3_74:                               ;   in Loop: Header=BB3_75 Depth=2
	v_add_nc_u32_e32 v30, s12, v30
	v_add_nc_u64_e32 v[28:29], s[50:51], v[28:29]
	s_wait_loadcnt 0x0
	global_store_b128 v[32:33], v[0:3], off offset:-16
	v_cmp_le_i32_e32 vcc_lo, s23, v30
	s_or_b32 s70, vcc_lo, s70
	s_wait_xcnt 0x0
	s_and_not1_b32 exec_lo, exec_lo, s70
	s_cbranch_execz .LBB3_77
.LBB3_75:                               ;   Parent Loop BB3_4 Depth=1
                                        ; =>  This Loop Header: Depth=2
                                        ;       Child Loop BB3_76 Depth 3
	v_ashrrev_i32_e32 v31, 31, v30
	v_mov_b64_e32 v[34:35], v[28:29]
	s_and_not1_b32 vcc_lo, exec_lo, s88
	s_mov_b64 s[66:67], s[52:53]
	s_mov_b64 s[68:69], s[54:55]
	v_mul_u64_e32 v[0:1], s[20:21], v[30:31]
	s_mov_b32 s71, s46
	s_delay_alu instid0(VALU_DEP_1)
	v_lshl_add_u64 v[32:33], v[0:1], 4, s[64:65]
	global_load_b128 v[0:3], v[32:33], off offset:-16
	s_cbranch_vccnz .LBB3_74
.LBB3_76:                               ;   Parent Loop BB3_4 Depth=1
                                        ;     Parent Loop BB3_75 Depth=2
                                        ; =>    This Inner Loop Header: Depth=3
	global_load_b128 v[36:39], v[34:35], off offset:-8
	s_clause 0x1
	global_load_b64 v[44:45], v5, s[68:69]
	global_load_b64 v[46:47], v5, s[66:67]
	s_add_co_i32 s71, s71, -1
	s_wait_xcnt 0x1
	s_add_nc_u64 s[68:69], s[68:69], 8
	s_cmp_eq_u32 s71, 0
	s_wait_xcnt 0x0
	s_add_nc_u64 s[66:67], s[66:67], 8
	s_wait_loadcnt 0x1
	v_mul_f64_e32 v[40:41], v[44:45], v[36:37]
	v_mul_f64_e32 v[42:43], v[44:45], v[38:39]
	s_wait_loadcnt 0x0
	v_mul_f64_e32 v[36:37], v[46:47], v[36:37]
	v_mul_f64_e32 v[38:39], v[46:47], v[38:39]
	s_delay_alu instid0(VALU_DEP_4) | instskip(NEXT) | instid1(VALU_DEP_4)
	v_fmac_f64_e32 v[40:41], v[0:1], v[46:47]
	v_fmac_f64_e32 v[42:43], v[2:3], v[46:47]
	s_delay_alu instid0(VALU_DEP_4) | instskip(NEXT) | instid1(VALU_DEP_4)
	v_fma_f64 v[0:1], v[0:1], v[44:45], -v[36:37]
	v_fma_f64 v[2:3], v[2:3], v[44:45], -v[38:39]
	global_store_b128 v[34:35], v[40:43], off offset:-8
	s_wait_xcnt 0x0
	v_add_nc_u64_e32 v[34:35], 16, v[34:35]
	s_cbranch_scc0 .LBB3_76
	s_branch .LBB3_74
.LBB3_77:                               ;   in Loop: Header=BB3_4 Depth=1
	s_or_b32 exec_lo, exec_lo, s47
.LBB3_78:                               ;   in Loop: Header=BB3_4 Depth=1
	s_mov_b32 s47, 0
.LBB3_79:                               ;   in Loop: Header=BB3_4 Depth=1
	s_delay_alu instid0(SALU_CYCLE_1)
	s_and_not1_b32 vcc_lo, exec_lo, s47
	s_cbranch_vccnz .LBB3_86
; %bb.80:                               ;   in Loop: Header=BB3_4 Depth=1
	s_and_saveexec_b32 s47, s1
	s_cbranch_execz .LBB3_85
; %bb.81:                               ;   in Loop: Header=BB3_4 Depth=1
	v_add_nc_u64_e32 v[28:29], s[58:59], v[22:23]
	v_mov_b32_e32 v30, v4
	s_mov_b32 s68, 0
	s_branch .LBB3_83
.LBB3_82:                               ;   in Loop: Header=BB3_83 Depth=2
	v_add_nc_u32_e32 v30, s12, v30
	v_add_nc_u64_e32 v[28:29], s[50:51], v[28:29]
	s_wait_loadcnt 0x0
	global_store_b128 v[32:33], v[0:3], off
	v_cmp_le_i32_e32 vcc_lo, s23, v30
	s_or_b32 s68, vcc_lo, s68
	s_wait_xcnt 0x0
	s_and_not1_b32 exec_lo, exec_lo, s68
	s_cbranch_execz .LBB3_85
.LBB3_83:                               ;   Parent Loop BB3_4 Depth=1
                                        ; =>  This Loop Header: Depth=2
                                        ;       Child Loop BB3_84 Depth 3
	s_delay_alu instid0(VALU_DEP_1) | instskip(NEXT) | instid1(VALU_DEP_3)
	v_ashrrev_i32_e32 v31, 31, v30
	v_mov_b64_e32 v[34:35], v[28:29]
	s_and_not1_b32 vcc_lo, exec_lo, s88
	s_mov_b64 s[64:65], s[62:63]
	s_mov_b64 s[66:67], s[60:61]
	v_mul_u64_e32 v[0:1], s[20:21], v[30:31]
	s_mov_b32 s69, s13
	s_delay_alu instid0(VALU_DEP_1)
	v_lshl_add_u64 v[32:33], v[0:1], 4, s[56:57]
	global_load_b128 v[0:3], v[32:33], off
	s_cbranch_vccnz .LBB3_82
.LBB3_84:                               ;   Parent Loop BB3_4 Depth=1
                                        ;     Parent Loop BB3_83 Depth=2
                                        ; =>    This Inner Loop Header: Depth=3
	s_clause 0x1
	global_load_b64 v[40:41], v5, s[64:65]
	global_load_b64 v[42:43], v5, s[66:67]
	global_load_b128 v[36:39], v[34:35], off offset:-8
	s_wait_loadcnt 0x3
	v_mov_b64_e32 v[44:45], v[0:1]
	v_mov_b64_e32 v[46:47], v[2:3]
	s_add_co_i32 s69, s69, -1
	s_wait_xcnt 0x1
	s_add_nc_u64 s[66:67], s[66:67], -8
	s_cmp_lt_u32 s69, 3
	s_add_nc_u64 s[64:65], s[64:65], -8
	s_wait_loadcnt 0x2
	v_mul_f64_e32 v[48:49], v[44:45], v[40:41]
	v_mul_f64_e32 v[50:51], v[46:47], v[40:41]
	s_wait_loadcnt 0x0
	v_mul_f64_e32 v[0:1], v[40:41], v[36:37]
	v_mul_f64_e32 v[2:3], v[40:41], v[38:39]
	s_delay_alu instid0(VALU_DEP_4) | instskip(NEXT) | instid1(VALU_DEP_4)
	v_fma_f64 v[36:37], v[42:43], v[36:37], -v[48:49]
	v_fma_f64 v[38:39], v[42:43], v[38:39], -v[50:51]
	s_delay_alu instid0(VALU_DEP_4) | instskip(NEXT) | instid1(VALU_DEP_4)
	v_fmac_f64_e32 v[0:1], v[44:45], v[42:43]
	v_fmac_f64_e32 v[2:3], v[46:47], v[42:43]
	global_store_b128 v[34:35], v[36:39], off offset:-8
	s_wait_xcnt 0x0
	v_add_nc_u64_e32 v[34:35], -16, v[34:35]
	s_cbranch_scc0 .LBB3_84
	s_branch .LBB3_82
.LBB3_85:                               ;   in Loop: Header=BB3_4 Depth=1
	s_or_b32 exec_lo, exec_lo, s47
.LBB3_86:                               ;   in Loop: Header=BB3_4 Depth=1
	s_mov_b32 s47, 0
.LBB3_87:                               ;   in Loop: Header=BB3_4 Depth=1
	s_delay_alu instid0(SALU_CYCLE_1)
	s_and_not1_b32 vcc_lo, exec_lo, s47
	s_cbranch_vccnz .LBB3_94
; %bb.88:                               ;   in Loop: Header=BB3_4 Depth=1
	s_and_saveexec_b32 s47, s1
	s_cbranch_execz .LBB3_93
; %bb.89:                               ;   in Loop: Header=BB3_4 Depth=1
	v_add_nc_u64_e32 v[28:29], s[58:59], v[24:25]
	v_mov_b32_e32 v30, v4
	s_mov_b32 s68, 0
	s_branch .LBB3_91
.LBB3_90:                               ;   in Loop: Header=BB3_91 Depth=2
	v_add_nc_u32_e32 v30, s12, v30
	v_add_nc_u64_e32 v[28:29], s[50:51], v[28:29]
	s_wait_loadcnt 0x0
	global_store_b128 v[32:33], v[0:3], off
	v_cmp_le_i32_e32 vcc_lo, s23, v30
	s_or_b32 s68, vcc_lo, s68
	s_wait_xcnt 0x0
	s_and_not1_b32 exec_lo, exec_lo, s68
	s_cbranch_execz .LBB3_93
.LBB3_91:                               ;   Parent Loop BB3_4 Depth=1
                                        ; =>  This Loop Header: Depth=2
                                        ;       Child Loop BB3_92 Depth 3
	s_delay_alu instid0(VALU_DEP_1) | instskip(NEXT) | instid1(VALU_DEP_3)
	v_ashrrev_i32_e32 v31, 31, v30
	v_mov_b64_e32 v[34:35], v[28:29]
	s_and_not1_b32 vcc_lo, exec_lo, s88
	s_mov_b32 s69, s46
	s_mov_b64 s[64:65], s[54:55]
	v_mul_u64_e32 v[0:1], s[20:21], v[30:31]
	s_mov_b64 s[66:67], s[52:53]
	s_delay_alu instid0(VALU_DEP_1)
	v_lshl_add_u64 v[32:33], v[0:1], 4, s[56:57]
	global_load_b128 v[0:3], v[32:33], off
	s_cbranch_vccnz .LBB3_90
.LBB3_92:                               ;   Parent Loop BB3_4 Depth=1
                                        ;     Parent Loop BB3_91 Depth=2
                                        ; =>    This Inner Loop Header: Depth=3
	s_clause 0x1
	global_load_b64 v[40:41], v5, s[66:67]
	global_load_b64 v[42:43], v5, s[64:65]
	global_load_b128 v[36:39], v[34:35], off
	s_wait_loadcnt 0x3
	v_mov_b64_e32 v[44:45], v[0:1]
	v_mov_b64_e32 v[46:47], v[2:3]
	s_add_co_i32 s69, s69, -1
	s_wait_xcnt 0x2
	s_add_nc_u64 s[66:67], s[66:67], 8
	s_cmp_eq_u32 s69, 0
	s_wait_xcnt 0x1
	s_add_nc_u64 s[64:65], s[64:65], 8
	s_wait_loadcnt 0x2
	v_mul_f64_e32 v[48:49], v[44:45], v[40:41]
	v_mul_f64_e32 v[50:51], v[46:47], v[40:41]
	s_wait_loadcnt 0x0
	v_mul_f64_e32 v[0:1], v[40:41], v[36:37]
	v_mul_f64_e32 v[2:3], v[40:41], v[38:39]
	s_delay_alu instid0(VALU_DEP_4) | instskip(NEXT) | instid1(VALU_DEP_4)
	v_fma_f64 v[36:37], v[42:43], v[36:37], -v[48:49]
	v_fma_f64 v[38:39], v[42:43], v[38:39], -v[50:51]
	s_delay_alu instid0(VALU_DEP_4) | instskip(NEXT) | instid1(VALU_DEP_4)
	v_fmac_f64_e32 v[0:1], v[44:45], v[42:43]
	v_fmac_f64_e32 v[2:3], v[46:47], v[42:43]
	global_store_b128 v[34:35], v[36:39], off
	s_wait_xcnt 0x0
	v_add_nc_u64_e32 v[34:35], 16, v[34:35]
	s_cbranch_scc0 .LBB3_92
	s_branch .LBB3_90
.LBB3_93:                               ;   in Loop: Header=BB3_4 Depth=1
	s_or_b32 exec_lo, exec_lo, s47
.LBB3_94:                               ;   in Loop: Header=BB3_4 Depth=1
	s_mov_b32 s47, 0
.LBB3_95:                               ;   in Loop: Header=BB3_4 Depth=1
	s_delay_alu instid0(SALU_CYCLE_1)
	s_and_not1_b32 vcc_lo, exec_lo, s47
	s_cbranch_vccnz .LBB3_102
; %bb.96:                               ;   in Loop: Header=BB3_4 Depth=1
	s_and_saveexec_b32 s47, s1
	s_cbranch_execz .LBB3_101
; %bb.97:                               ;   in Loop: Header=BB3_4 Depth=1
	v_add_nc_u64_e32 v[28:29], s[58:59], v[14:15]
	v_mov_b32_e32 v30, v4
	s_lshl_b64 s[64:65], s[30:31], 4
	s_mov_b32 s70, 0
	s_add_nc_u64 s[64:65], s[56:57], s[64:65]
	s_branch .LBB3_99
.LBB3_98:                               ;   in Loop: Header=BB3_99 Depth=2
	v_add_nc_u32_e32 v30, s12, v30
	v_add_nc_u64_e32 v[28:29], s[50:51], v[28:29]
	v_lshl_add_u64 v[32:33], v[32:33], 4, s[56:57]
	s_delay_alu instid0(VALU_DEP_3)
	v_cmp_le_i32_e32 vcc_lo, s23, v30
	s_wait_loadcnt 0x0
	global_store_b128 v[32:33], v[0:3], off
	s_or_b32 s70, vcc_lo, s70
	s_wait_xcnt 0x0
	s_and_not1_b32 exec_lo, exec_lo, s70
	s_cbranch_execz .LBB3_101
.LBB3_99:                               ;   Parent Loop BB3_4 Depth=1
                                        ; =>  This Loop Header: Depth=2
                                        ;       Child Loop BB3_100 Depth 3
	v_ashrrev_i32_e32 v31, 31, v30
	v_mov_b64_e32 v[34:35], v[28:29]
	s_and_not1_b32 vcc_lo, exec_lo, s88
	s_mov_b64 s[66:67], s[62:63]
	s_mov_b64 s[68:69], s[60:61]
	v_mul_u64_e32 v[32:33], s[20:21], v[30:31]
	s_mov_b32 s71, s46
	s_delay_alu instid0(VALU_DEP_1)
	v_lshl_add_u64 v[0:1], v[32:33], 4, s[64:65]
	global_load_b128 v[0:3], v[0:1], off offset:-16
	s_cbranch_vccnz .LBB3_98
.LBB3_100:                              ;   Parent Loop BB3_4 Depth=1
                                        ;     Parent Loop BB3_99 Depth=2
                                        ; =>    This Inner Loop Header: Depth=3
	global_load_b128 v[36:39], v[34:35], off
	s_clause 0x1
	global_load_b64 v[40:41], v5, s[66:67]
	global_load_b64 v[42:43], v5, s[68:69]
	s_wait_loadcnt 0x3
	v_mov_b64_e32 v[48:49], v[2:3]
	v_mov_b64_e32 v[50:51], v[0:1]
	s_add_co_i32 s71, s71, -1
	s_wait_xcnt 0x0
	s_add_nc_u64 s[68:69], s[68:69], -8
	s_cmp_eq_u32 s71, 0
	s_add_nc_u64 s[66:67], s[66:67], -8
	s_wait_loadcnt 0x1
	v_mul_f64_e32 v[44:45], v[40:41], v[36:37]
	v_mul_f64_e32 v[46:47], v[40:41], v[38:39]
	s_wait_loadcnt 0x0
	v_mul_f64_e32 v[0:1], v[42:43], v[36:37]
	v_mul_f64_e32 v[2:3], v[42:43], v[38:39]
	s_delay_alu instid0(VALU_DEP_4) | instskip(NEXT) | instid1(VALU_DEP_4)
	v_fma_f64 v[36:37], v[50:51], v[42:43], -v[44:45]
	v_fma_f64 v[38:39], v[48:49], v[42:43], -v[46:47]
	s_delay_alu instid0(VALU_DEP_4) | instskip(NEXT) | instid1(VALU_DEP_4)
	v_fmac_f64_e32 v[0:1], v[50:51], v[40:41]
	v_fmac_f64_e32 v[2:3], v[48:49], v[40:41]
	global_store_b128 v[34:35], v[36:39], off offset:16
	s_wait_xcnt 0x0
	v_add_nc_u64_e32 v[34:35], -16, v[34:35]
	s_cbranch_scc0 .LBB3_100
	s_branch .LBB3_98
.LBB3_101:                              ;   in Loop: Header=BB3_4 Depth=1
	s_or_b32 exec_lo, exec_lo, s47
.LBB3_102:                              ;   in Loop: Header=BB3_4 Depth=1
	s_cbranch_execnz .LBB3_3
.LBB3_103:                              ;   in Loop: Header=BB3_4 Depth=1
	s_and_saveexec_b32 s47, s1
	s_cbranch_execz .LBB3_2
; %bb.104:                              ;   in Loop: Header=BB3_4 Depth=1
	v_add_nc_u64_e32 v[28:29], s[58:59], v[26:27]
	v_mov_b32_e32 v30, v4
	s_lshl_b64 s[58:59], s[30:31], 4
	s_mov_b32 s64, 0
	s_add_nc_u64 s[58:59], s[56:57], s[58:59]
	s_branch .LBB3_106
.LBB3_105:                              ;   in Loop: Header=BB3_106 Depth=2
	v_add_nc_u32_e32 v30, s12, v30
	v_add_nc_u64_e32 v[28:29], s[50:51], v[28:29]
	v_lshl_add_u64 v[32:33], v[32:33], 4, s[58:59]
	s_delay_alu instid0(VALU_DEP_3)
	v_cmp_le_i32_e32 vcc_lo, s23, v30
	s_wait_loadcnt 0x0
	global_store_b128 v[32:33], v[0:3], off offset:-16
	s_or_b32 s64, vcc_lo, s64
	s_wait_xcnt 0x0
	s_and_not1_b32 exec_lo, exec_lo, s64
	s_cbranch_execz .LBB3_2
.LBB3_106:                              ;   Parent Loop BB3_4 Depth=1
                                        ; =>  This Loop Header: Depth=2
                                        ;       Child Loop BB3_107 Depth 3
	v_ashrrev_i32_e32 v31, 31, v30
	v_mov_b64_e32 v[34:35], v[28:29]
	s_and_not1_b32 vcc_lo, exec_lo, s88
	s_mov_b64 s[60:61], s[54:55]
	s_mov_b64 s[62:63], s[52:53]
	v_mul_u64_e32 v[32:33], s[20:21], v[30:31]
	s_mov_b32 s65, s46
	s_delay_alu instid0(VALU_DEP_1)
	v_lshl_add_u64 v[0:1], v[32:33], 4, s[56:57]
	global_load_b128 v[0:3], v[0:1], off
	s_cbranch_vccnz .LBB3_105
.LBB3_107:                              ;   Parent Loop BB3_4 Depth=1
                                        ;     Parent Loop BB3_106 Depth=2
                                        ; =>    This Inner Loop Header: Depth=3
	global_load_b128 v[36:39], v[34:35], off offset:-8
	s_clause 0x1
	global_load_b64 v[44:45], v5, s[62:63]
	global_load_b64 v[46:47], v5, s[60:61]
	s_add_co_i32 s65, s65, -1
	s_wait_xcnt 0x1
	s_add_nc_u64 s[62:63], s[62:63], 8
	s_cmp_eq_u32 s65, 0
	s_wait_xcnt 0x0
	s_add_nc_u64 s[60:61], s[60:61], 8
	s_wait_loadcnt 0x1
	v_mul_f64_e32 v[40:41], v[44:45], v[36:37]
	v_mul_f64_e32 v[42:43], v[44:45], v[38:39]
	;; [unrolled: 1-line block ×4, first 2 shown]
	s_wait_loadcnt 0x0
	s_delay_alu instid0(VALU_DEP_4) | instskip(NEXT) | instid1(VALU_DEP_4)
	v_fmac_f64_e32 v[40:41], v[0:1], v[46:47]
	v_fmac_f64_e32 v[42:43], v[2:3], v[46:47]
	s_delay_alu instid0(VALU_DEP_4) | instskip(NEXT) | instid1(VALU_DEP_4)
	v_fma_f64 v[0:1], v[46:47], v[36:37], -v[48:49]
	v_fma_f64 v[2:3], v[46:47], v[38:39], -v[44:45]
	global_store_b128 v[34:35], v[40:43], off offset:-24
	s_wait_xcnt 0x0
	v_add_nc_u64_e32 v[34:35], 16, v[34:35]
	s_cbranch_scc0 .LBB3_107
	s_branch .LBB3_105
.LBB3_108:
	s_endpgm
	.section	.rodata,"a",@progbits
	.p2align	6, 0x0
	.amdhsa_kernel _ZN9rocsolver6v33100L11lasr_kernelI19rocblas_complex_numIdEdPS3_iEEv13rocblas_side_14rocblas_pivot_15rocblas_direct_T2_S8_PT0_lSA_lT1_lS8_lS8_
		.amdhsa_group_segment_fixed_size 0
		.amdhsa_private_segment_fixed_size 0
		.amdhsa_kernarg_size 352
		.amdhsa_user_sgpr_count 2
		.amdhsa_user_sgpr_dispatch_ptr 0
		.amdhsa_user_sgpr_queue_ptr 0
		.amdhsa_user_sgpr_kernarg_segment_ptr 1
		.amdhsa_user_sgpr_dispatch_id 0
		.amdhsa_user_sgpr_kernarg_preload_length 0
		.amdhsa_user_sgpr_kernarg_preload_offset 0
		.amdhsa_user_sgpr_private_segment_size 0
		.amdhsa_wavefront_size32 1
		.amdhsa_uses_dynamic_stack 0
		.amdhsa_enable_private_segment 0
		.amdhsa_system_sgpr_workgroup_id_x 1
		.amdhsa_system_sgpr_workgroup_id_y 0
		.amdhsa_system_sgpr_workgroup_id_z 1
		.amdhsa_system_sgpr_workgroup_info 0
		.amdhsa_system_vgpr_workitem_id 0
		.amdhsa_next_free_vgpr 54
		.amdhsa_next_free_sgpr 91
		.amdhsa_named_barrier_count 0
		.amdhsa_reserve_vcc 1
		.amdhsa_float_round_mode_32 0
		.amdhsa_float_round_mode_16_64 0
		.amdhsa_float_denorm_mode_32 3
		.amdhsa_float_denorm_mode_16_64 3
		.amdhsa_fp16_overflow 0
		.amdhsa_memory_ordered 1
		.amdhsa_forward_progress 1
		.amdhsa_inst_pref_size 36
		.amdhsa_round_robin_scheduling 0
		.amdhsa_exception_fp_ieee_invalid_op 0
		.amdhsa_exception_fp_denorm_src 0
		.amdhsa_exception_fp_ieee_div_zero 0
		.amdhsa_exception_fp_ieee_overflow 0
		.amdhsa_exception_fp_ieee_underflow 0
		.amdhsa_exception_fp_ieee_inexact 0
		.amdhsa_exception_int_div_zero 0
	.end_amdhsa_kernel
	.section	.text._ZN9rocsolver6v33100L11lasr_kernelI19rocblas_complex_numIdEdPS3_iEEv13rocblas_side_14rocblas_pivot_15rocblas_direct_T2_S8_PT0_lSA_lT1_lS8_lS8_,"axG",@progbits,_ZN9rocsolver6v33100L11lasr_kernelI19rocblas_complex_numIdEdPS3_iEEv13rocblas_side_14rocblas_pivot_15rocblas_direct_T2_S8_PT0_lSA_lT1_lS8_lS8_,comdat
.Lfunc_end3:
	.size	_ZN9rocsolver6v33100L11lasr_kernelI19rocblas_complex_numIdEdPS3_iEEv13rocblas_side_14rocblas_pivot_15rocblas_direct_T2_S8_PT0_lSA_lT1_lS8_lS8_, .Lfunc_end3-_ZN9rocsolver6v33100L11lasr_kernelI19rocblas_complex_numIdEdPS3_iEEv13rocblas_side_14rocblas_pivot_15rocblas_direct_T2_S8_PT0_lSA_lT1_lS8_lS8_
                                        ; -- End function
	.set _ZN9rocsolver6v33100L11lasr_kernelI19rocblas_complex_numIdEdPS3_iEEv13rocblas_side_14rocblas_pivot_15rocblas_direct_T2_S8_PT0_lSA_lT1_lS8_lS8_.num_vgpr, 54
	.set _ZN9rocsolver6v33100L11lasr_kernelI19rocblas_complex_numIdEdPS3_iEEv13rocblas_side_14rocblas_pivot_15rocblas_direct_T2_S8_PT0_lSA_lT1_lS8_lS8_.num_agpr, 0
	.set _ZN9rocsolver6v33100L11lasr_kernelI19rocblas_complex_numIdEdPS3_iEEv13rocblas_side_14rocblas_pivot_15rocblas_direct_T2_S8_PT0_lSA_lT1_lS8_lS8_.numbered_sgpr, 91
	.set _ZN9rocsolver6v33100L11lasr_kernelI19rocblas_complex_numIdEdPS3_iEEv13rocblas_side_14rocblas_pivot_15rocblas_direct_T2_S8_PT0_lSA_lT1_lS8_lS8_.num_named_barrier, 0
	.set _ZN9rocsolver6v33100L11lasr_kernelI19rocblas_complex_numIdEdPS3_iEEv13rocblas_side_14rocblas_pivot_15rocblas_direct_T2_S8_PT0_lSA_lT1_lS8_lS8_.private_seg_size, 0
	.set _ZN9rocsolver6v33100L11lasr_kernelI19rocblas_complex_numIdEdPS3_iEEv13rocblas_side_14rocblas_pivot_15rocblas_direct_T2_S8_PT0_lSA_lT1_lS8_lS8_.uses_vcc, 1
	.set _ZN9rocsolver6v33100L11lasr_kernelI19rocblas_complex_numIdEdPS3_iEEv13rocblas_side_14rocblas_pivot_15rocblas_direct_T2_S8_PT0_lSA_lT1_lS8_lS8_.uses_flat_scratch, 0
	.set _ZN9rocsolver6v33100L11lasr_kernelI19rocblas_complex_numIdEdPS3_iEEv13rocblas_side_14rocblas_pivot_15rocblas_direct_T2_S8_PT0_lSA_lT1_lS8_lS8_.has_dyn_sized_stack, 0
	.set _ZN9rocsolver6v33100L11lasr_kernelI19rocblas_complex_numIdEdPS3_iEEv13rocblas_side_14rocblas_pivot_15rocblas_direct_T2_S8_PT0_lSA_lT1_lS8_lS8_.has_recursion, 0
	.set _ZN9rocsolver6v33100L11lasr_kernelI19rocblas_complex_numIdEdPS3_iEEv13rocblas_side_14rocblas_pivot_15rocblas_direct_T2_S8_PT0_lSA_lT1_lS8_lS8_.has_indirect_call, 0
	.section	.AMDGPU.csdata,"",@progbits
; Kernel info:
; codeLenInByte = 4536
; TotalNumSgprs: 93
; NumVgprs: 54
; ScratchSize: 0
; MemoryBound: 0
; FloatMode: 240
; IeeeMode: 1
; LDSByteSize: 0 bytes/workgroup (compile time only)
; SGPRBlocks: 0
; VGPRBlocks: 3
; NumSGPRsForWavesPerEU: 93
; NumVGPRsForWavesPerEU: 54
; NamedBarCnt: 0
; Occupancy: 16
; WaveLimiterHint : 0
; COMPUTE_PGM_RSRC2:SCRATCH_EN: 0
; COMPUTE_PGM_RSRC2:USER_SGPR: 2
; COMPUTE_PGM_RSRC2:TRAP_HANDLER: 0
; COMPUTE_PGM_RSRC2:TGID_X_EN: 1
; COMPUTE_PGM_RSRC2:TGID_Y_EN: 0
; COMPUTE_PGM_RSRC2:TGID_Z_EN: 1
; COMPUTE_PGM_RSRC2:TIDIG_COMP_CNT: 0
	.section	.AMDGPU.gpr_maximums,"",@progbits
	.set amdgpu.max_num_vgpr, 0
	.set amdgpu.max_num_agpr, 0
	.set amdgpu.max_num_sgpr, 0
	.section	.AMDGPU.csdata,"",@progbits
	.type	__hip_cuid_7a1af9af79605111,@object ; @__hip_cuid_7a1af9af79605111
	.section	.bss,"aw",@nobits
	.globl	__hip_cuid_7a1af9af79605111
__hip_cuid_7a1af9af79605111:
	.byte	0                               ; 0x0
	.size	__hip_cuid_7a1af9af79605111, 1

	.ident	"AMD clang version 22.0.0git (https://github.com/RadeonOpenCompute/llvm-project roc-7.2.4 26084 f58b06dce1f9c15707c5f808fd002e18c2accf7e)"
	.section	".note.GNU-stack","",@progbits
	.addrsig
	.addrsig_sym __hip_cuid_7a1af9af79605111
	.amdgpu_metadata
---
amdhsa.kernels:
  - .args:
      - .offset:         0
        .size:           4
        .value_kind:     by_value
      - .offset:         4
        .size:           4
        .value_kind:     by_value
      - .offset:         8
        .size:           4
        .value_kind:     by_value
      - .offset:         12
        .size:           4
        .value_kind:     by_value
      - .offset:         16
        .size:           4
        .value_kind:     by_value
      - .address_space:  global
        .offset:         24
        .size:           8
        .value_kind:     global_buffer
      - .offset:         32
        .size:           8
        .value_kind:     by_value
      - .address_space:  global
        .offset:         40
        .size:           8
        .value_kind:     global_buffer
      - .offset:         48
        .size:           8
        .value_kind:     by_value
      - .address_space:  global
        .offset:         56
        .size:           8
        .value_kind:     global_buffer
      - .offset:         64
        .size:           8
        .value_kind:     by_value
      - .offset:         72
        .size:           4
        .value_kind:     by_value
      - .offset:         80
        .size:           8
        .value_kind:     by_value
      - .offset:         88
        .size:           4
        .value_kind:     by_value
      - .offset:         96
        .size:           4
        .value_kind:     hidden_block_count_x
      - .offset:         100
        .size:           4
        .value_kind:     hidden_block_count_y
      - .offset:         104
        .size:           4
        .value_kind:     hidden_block_count_z
      - .offset:         108
        .size:           2
        .value_kind:     hidden_group_size_x
      - .offset:         110
        .size:           2
        .value_kind:     hidden_group_size_y
      - .offset:         112
        .size:           2
        .value_kind:     hidden_group_size_z
      - .offset:         114
        .size:           2
        .value_kind:     hidden_remainder_x
      - .offset:         116
        .size:           2
        .value_kind:     hidden_remainder_y
      - .offset:         118
        .size:           2
        .value_kind:     hidden_remainder_z
      - .offset:         136
        .size:           8
        .value_kind:     hidden_global_offset_x
      - .offset:         144
        .size:           8
        .value_kind:     hidden_global_offset_y
      - .offset:         152
        .size:           8
        .value_kind:     hidden_global_offset_z
      - .offset:         160
        .size:           2
        .value_kind:     hidden_grid_dims
    .group_segment_fixed_size: 0
    .kernarg_segment_align: 8
    .kernarg_segment_size: 352
    .language:       OpenCL C
    .language_version:
      - 2
      - 0
    .max_flat_workgroup_size: 64
    .name:           _ZN9rocsolver6v33100L11lasr_kernelIffPfiEEv13rocblas_side_14rocblas_pivot_15rocblas_direct_T2_S6_PT0_lS8_lT1_lS6_lS6_
    .private_segment_fixed_size: 0
    .sgpr_count:     93
    .sgpr_spill_count: 0
    .symbol:         _ZN9rocsolver6v33100L11lasr_kernelIffPfiEEv13rocblas_side_14rocblas_pivot_15rocblas_direct_T2_S6_PT0_lS8_lT1_lS6_lS6_.kd
    .uniform_work_group_size: 1
    .uses_dynamic_stack: false
    .vgpr_count:     42
    .vgpr_spill_count: 0
    .wavefront_size: 32
  - .args:
      - .offset:         0
        .size:           4
        .value_kind:     by_value
      - .offset:         4
        .size:           4
        .value_kind:     by_value
      - .offset:         8
        .size:           4
        .value_kind:     by_value
      - .offset:         12
        .size:           4
        .value_kind:     by_value
      - .offset:         16
        .size:           4
        .value_kind:     by_value
      - .address_space:  global
        .offset:         24
        .size:           8
        .value_kind:     global_buffer
      - .offset:         32
        .size:           8
        .value_kind:     by_value
      - .address_space:  global
        .offset:         40
        .size:           8
        .value_kind:     global_buffer
      - .offset:         48
        .size:           8
        .value_kind:     by_value
      - .address_space:  global
        .offset:         56
        .size:           8
        .value_kind:     global_buffer
      - .offset:         64
        .size:           8
        .value_kind:     by_value
      - .offset:         72
        .size:           4
        .value_kind:     by_value
      - .offset:         80
        .size:           8
        .value_kind:     by_value
      - .offset:         88
        .size:           4
        .value_kind:     by_value
      - .offset:         96
        .size:           4
        .value_kind:     hidden_block_count_x
      - .offset:         100
        .size:           4
        .value_kind:     hidden_block_count_y
      - .offset:         104
        .size:           4
        .value_kind:     hidden_block_count_z
      - .offset:         108
        .size:           2
        .value_kind:     hidden_group_size_x
      - .offset:         110
        .size:           2
        .value_kind:     hidden_group_size_y
      - .offset:         112
        .size:           2
        .value_kind:     hidden_group_size_z
      - .offset:         114
        .size:           2
        .value_kind:     hidden_remainder_x
      - .offset:         116
        .size:           2
        .value_kind:     hidden_remainder_y
      - .offset:         118
        .size:           2
        .value_kind:     hidden_remainder_z
      - .offset:         136
        .size:           8
        .value_kind:     hidden_global_offset_x
      - .offset:         144
        .size:           8
        .value_kind:     hidden_global_offset_y
      - .offset:         152
        .size:           8
        .value_kind:     hidden_global_offset_z
      - .offset:         160
        .size:           2
        .value_kind:     hidden_grid_dims
    .group_segment_fixed_size: 0
    .kernarg_segment_align: 8
    .kernarg_segment_size: 352
    .language:       OpenCL C
    .language_version:
      - 2
      - 0
    .max_flat_workgroup_size: 64
    .name:           _ZN9rocsolver6v33100L11lasr_kernelIddPdiEEv13rocblas_side_14rocblas_pivot_15rocblas_direct_T2_S6_PT0_lS8_lT1_lS6_lS6_
    .private_segment_fixed_size: 0
    .sgpr_count:     93
    .sgpr_spill_count: 0
    .symbol:         _ZN9rocsolver6v33100L11lasr_kernelIddPdiEEv13rocblas_side_14rocblas_pivot_15rocblas_direct_T2_S6_PT0_lS8_lT1_lS6_lS6_.kd
    .uniform_work_group_size: 1
    .uses_dynamic_stack: false
    .vgpr_count:     46
    .vgpr_spill_count: 0
    .wavefront_size: 32
  - .args:
      - .offset:         0
        .size:           4
        .value_kind:     by_value
      - .offset:         4
        .size:           4
        .value_kind:     by_value
      - .offset:         8
        .size:           4
        .value_kind:     by_value
      - .offset:         12
        .size:           4
        .value_kind:     by_value
      - .offset:         16
        .size:           4
        .value_kind:     by_value
      - .address_space:  global
        .offset:         24
        .size:           8
        .value_kind:     global_buffer
      - .offset:         32
        .size:           8
        .value_kind:     by_value
      - .address_space:  global
        .offset:         40
        .size:           8
        .value_kind:     global_buffer
      - .offset:         48
        .size:           8
        .value_kind:     by_value
      - .address_space:  global
        .offset:         56
        .size:           8
        .value_kind:     global_buffer
      - .offset:         64
        .size:           8
        .value_kind:     by_value
      - .offset:         72
        .size:           4
        .value_kind:     by_value
      - .offset:         80
        .size:           8
        .value_kind:     by_value
      - .offset:         88
        .size:           4
        .value_kind:     by_value
      - .offset:         96
        .size:           4
        .value_kind:     hidden_block_count_x
      - .offset:         100
        .size:           4
        .value_kind:     hidden_block_count_y
      - .offset:         104
        .size:           4
        .value_kind:     hidden_block_count_z
      - .offset:         108
        .size:           2
        .value_kind:     hidden_group_size_x
      - .offset:         110
        .size:           2
        .value_kind:     hidden_group_size_y
      - .offset:         112
        .size:           2
        .value_kind:     hidden_group_size_z
      - .offset:         114
        .size:           2
        .value_kind:     hidden_remainder_x
      - .offset:         116
        .size:           2
        .value_kind:     hidden_remainder_y
      - .offset:         118
        .size:           2
        .value_kind:     hidden_remainder_z
      - .offset:         136
        .size:           8
        .value_kind:     hidden_global_offset_x
      - .offset:         144
        .size:           8
        .value_kind:     hidden_global_offset_y
      - .offset:         152
        .size:           8
        .value_kind:     hidden_global_offset_z
      - .offset:         160
        .size:           2
        .value_kind:     hidden_grid_dims
    .group_segment_fixed_size: 0
    .kernarg_segment_align: 8
    .kernarg_segment_size: 352
    .language:       OpenCL C
    .language_version:
      - 2
      - 0
    .max_flat_workgroup_size: 64
    .name:           _ZN9rocsolver6v33100L11lasr_kernelI19rocblas_complex_numIfEfPS3_iEEv13rocblas_side_14rocblas_pivot_15rocblas_direct_T2_S8_PT0_lSA_lT1_lS8_lS8_
    .private_segment_fixed_size: 0
    .sgpr_count:     93
    .sgpr_spill_count: 0
    .symbol:         _ZN9rocsolver6v33100L11lasr_kernelI19rocblas_complex_numIfEfPS3_iEEv13rocblas_side_14rocblas_pivot_15rocblas_direct_T2_S8_PT0_lSA_lT1_lS8_lS8_.kd
    .uniform_work_group_size: 1
    .uses_dynamic_stack: false
    .vgpr_count:     44
    .vgpr_spill_count: 0
    .wavefront_size: 32
  - .args:
      - .offset:         0
        .size:           4
        .value_kind:     by_value
      - .offset:         4
        .size:           4
        .value_kind:     by_value
      - .offset:         8
        .size:           4
        .value_kind:     by_value
      - .offset:         12
        .size:           4
        .value_kind:     by_value
      - .offset:         16
        .size:           4
        .value_kind:     by_value
      - .address_space:  global
        .offset:         24
        .size:           8
        .value_kind:     global_buffer
      - .offset:         32
        .size:           8
        .value_kind:     by_value
      - .address_space:  global
        .offset:         40
        .size:           8
        .value_kind:     global_buffer
      - .offset:         48
        .size:           8
        .value_kind:     by_value
      - .address_space:  global
        .offset:         56
        .size:           8
        .value_kind:     global_buffer
      - .offset:         64
        .size:           8
        .value_kind:     by_value
      - .offset:         72
        .size:           4
        .value_kind:     by_value
      - .offset:         80
        .size:           8
        .value_kind:     by_value
      - .offset:         88
        .size:           4
        .value_kind:     by_value
      - .offset:         96
        .size:           4
        .value_kind:     hidden_block_count_x
      - .offset:         100
        .size:           4
        .value_kind:     hidden_block_count_y
      - .offset:         104
        .size:           4
        .value_kind:     hidden_block_count_z
      - .offset:         108
        .size:           2
        .value_kind:     hidden_group_size_x
      - .offset:         110
        .size:           2
        .value_kind:     hidden_group_size_y
      - .offset:         112
        .size:           2
        .value_kind:     hidden_group_size_z
      - .offset:         114
        .size:           2
        .value_kind:     hidden_remainder_x
      - .offset:         116
        .size:           2
        .value_kind:     hidden_remainder_y
      - .offset:         118
        .size:           2
        .value_kind:     hidden_remainder_z
      - .offset:         136
        .size:           8
        .value_kind:     hidden_global_offset_x
      - .offset:         144
        .size:           8
        .value_kind:     hidden_global_offset_y
      - .offset:         152
        .size:           8
        .value_kind:     hidden_global_offset_z
      - .offset:         160
        .size:           2
        .value_kind:     hidden_grid_dims
    .group_segment_fixed_size: 0
    .kernarg_segment_align: 8
    .kernarg_segment_size: 352
    .language:       OpenCL C
    .language_version:
      - 2
      - 0
    .max_flat_workgroup_size: 64
    .name:           _ZN9rocsolver6v33100L11lasr_kernelI19rocblas_complex_numIdEdPS3_iEEv13rocblas_side_14rocblas_pivot_15rocblas_direct_T2_S8_PT0_lSA_lT1_lS8_lS8_
    .private_segment_fixed_size: 0
    .sgpr_count:     93
    .sgpr_spill_count: 0
    .symbol:         _ZN9rocsolver6v33100L11lasr_kernelI19rocblas_complex_numIdEdPS3_iEEv13rocblas_side_14rocblas_pivot_15rocblas_direct_T2_S8_PT0_lSA_lT1_lS8_lS8_.kd
    .uniform_work_group_size: 1
    .uses_dynamic_stack: false
    .vgpr_count:     54
    .vgpr_spill_count: 0
    .wavefront_size: 32
amdhsa.target:   amdgcn-amd-amdhsa--gfx1250
amdhsa.version:
  - 1
  - 2
...

	.end_amdgpu_metadata
